;; amdgpu-corpus repo=ROCm/rocFFT kind=compiled arch=gfx1030 opt=O3
	.text
	.amdgcn_target "amdgcn-amd-amdhsa--gfx1030"
	.amdhsa_code_object_version 6
	.protected	fft_rtc_back_len1700_factors_17_10_10_wgs_170_tpt_170_halfLds_half_ip_CI_unitstride_sbrr_C2R_dirReg ; -- Begin function fft_rtc_back_len1700_factors_17_10_10_wgs_170_tpt_170_halfLds_half_ip_CI_unitstride_sbrr_C2R_dirReg
	.globl	fft_rtc_back_len1700_factors_17_10_10_wgs_170_tpt_170_halfLds_half_ip_CI_unitstride_sbrr_C2R_dirReg
	.p2align	8
	.type	fft_rtc_back_len1700_factors_17_10_10_wgs_170_tpt_170_halfLds_half_ip_CI_unitstride_sbrr_C2R_dirReg,@function
fft_rtc_back_len1700_factors_17_10_10_wgs_170_tpt_170_halfLds_half_ip_CI_unitstride_sbrr_C2R_dirReg: ; @fft_rtc_back_len1700_factors_17_10_10_wgs_170_tpt_170_halfLds_half_ip_CI_unitstride_sbrr_C2R_dirReg
; %bb.0:
	s_clause 0x2
	s_load_dwordx4 s[8:11], s[4:5], 0x0
	s_load_dwordx2 s[2:3], s[4:5], 0x50
	s_load_dwordx2 s[12:13], s[4:5], 0x18
	v_mul_u32_u24_e32 v1, 0x182, v0
	v_mov_b32_e32 v3, 0
	v_add_nc_u32_sdwa v5, s6, v1 dst_sel:DWORD dst_unused:UNUSED_PAD src0_sel:DWORD src1_sel:WORD_1
	v_mov_b32_e32 v1, 0
	v_mov_b32_e32 v6, v3
	v_mov_b32_e32 v2, 0
	s_waitcnt lgkmcnt(0)
	v_cmp_lt_u64_e64 s0, s[10:11], 2
	s_and_b32 vcc_lo, exec_lo, s0
	s_cbranch_vccnz .LBB0_8
; %bb.1:
	s_load_dwordx2 s[0:1], s[4:5], 0x10
	v_mov_b32_e32 v1, 0
	s_add_u32 s6, s12, 8
	v_mov_b32_e32 v2, 0
	s_addc_u32 s7, s13, 0
	s_mov_b64 s[16:17], 1
	s_waitcnt lgkmcnt(0)
	s_add_u32 s14, s0, 8
	s_addc_u32 s15, s1, 0
.LBB0_2:                                ; =>This Inner Loop Header: Depth=1
	s_load_dwordx2 s[18:19], s[14:15], 0x0
                                        ; implicit-def: $vgpr7_vgpr8
	s_mov_b32 s0, exec_lo
	s_waitcnt lgkmcnt(0)
	v_or_b32_e32 v4, s19, v6
	v_cmpx_ne_u64_e32 0, v[3:4]
	s_xor_b32 s1, exec_lo, s0
	s_cbranch_execz .LBB0_4
; %bb.3:                                ;   in Loop: Header=BB0_2 Depth=1
	v_cvt_f32_u32_e32 v4, s18
	v_cvt_f32_u32_e32 v7, s19
	s_sub_u32 s0, 0, s18
	s_subb_u32 s20, 0, s19
	v_fmac_f32_e32 v4, 0x4f800000, v7
	v_rcp_f32_e32 v4, v4
	v_mul_f32_e32 v4, 0x5f7ffffc, v4
	v_mul_f32_e32 v7, 0x2f800000, v4
	v_trunc_f32_e32 v7, v7
	v_fmac_f32_e32 v4, 0xcf800000, v7
	v_cvt_u32_f32_e32 v7, v7
	v_cvt_u32_f32_e32 v4, v4
	v_mul_lo_u32 v8, s0, v7
	v_mul_hi_u32 v9, s0, v4
	v_mul_lo_u32 v10, s20, v4
	v_add_nc_u32_e32 v8, v9, v8
	v_mul_lo_u32 v9, s0, v4
	v_add_nc_u32_e32 v8, v8, v10
	v_mul_hi_u32 v10, v4, v9
	v_mul_lo_u32 v11, v4, v8
	v_mul_hi_u32 v12, v4, v8
	v_mul_hi_u32 v13, v7, v9
	v_mul_lo_u32 v9, v7, v9
	v_mul_hi_u32 v14, v7, v8
	v_mul_lo_u32 v8, v7, v8
	v_add_co_u32 v10, vcc_lo, v10, v11
	v_add_co_ci_u32_e32 v11, vcc_lo, 0, v12, vcc_lo
	v_add_co_u32 v9, vcc_lo, v10, v9
	v_add_co_ci_u32_e32 v9, vcc_lo, v11, v13, vcc_lo
	v_add_co_ci_u32_e32 v10, vcc_lo, 0, v14, vcc_lo
	v_add_co_u32 v8, vcc_lo, v9, v8
	v_add_co_ci_u32_e32 v9, vcc_lo, 0, v10, vcc_lo
	v_add_co_u32 v4, vcc_lo, v4, v8
	v_add_co_ci_u32_e32 v7, vcc_lo, v7, v9, vcc_lo
	v_mul_hi_u32 v8, s0, v4
	v_mul_lo_u32 v10, s20, v4
	v_mul_lo_u32 v9, s0, v7
	v_add_nc_u32_e32 v8, v8, v9
	v_mul_lo_u32 v9, s0, v4
	v_add_nc_u32_e32 v8, v8, v10
	v_mul_hi_u32 v10, v4, v9
	v_mul_lo_u32 v11, v4, v8
	v_mul_hi_u32 v12, v4, v8
	v_mul_hi_u32 v13, v7, v9
	v_mul_lo_u32 v9, v7, v9
	v_mul_hi_u32 v14, v7, v8
	v_mul_lo_u32 v8, v7, v8
	v_add_co_u32 v10, vcc_lo, v10, v11
	v_add_co_ci_u32_e32 v11, vcc_lo, 0, v12, vcc_lo
	v_add_co_u32 v9, vcc_lo, v10, v9
	v_add_co_ci_u32_e32 v9, vcc_lo, v11, v13, vcc_lo
	v_add_co_ci_u32_e32 v10, vcc_lo, 0, v14, vcc_lo
	v_add_co_u32 v8, vcc_lo, v9, v8
	v_add_co_ci_u32_e32 v9, vcc_lo, 0, v10, vcc_lo
	v_add_co_u32 v4, vcc_lo, v4, v8
	v_add_co_ci_u32_e32 v11, vcc_lo, v7, v9, vcc_lo
	v_mul_hi_u32 v13, v5, v4
	v_mad_u64_u32 v[9:10], null, v6, v4, 0
	v_mad_u64_u32 v[7:8], null, v5, v11, 0
	;; [unrolled: 1-line block ×3, first 2 shown]
	v_add_co_u32 v4, vcc_lo, v13, v7
	v_add_co_ci_u32_e32 v7, vcc_lo, 0, v8, vcc_lo
	v_add_co_u32 v4, vcc_lo, v4, v9
	v_add_co_ci_u32_e32 v4, vcc_lo, v7, v10, vcc_lo
	v_add_co_ci_u32_e32 v7, vcc_lo, 0, v12, vcc_lo
	v_add_co_u32 v4, vcc_lo, v4, v11
	v_add_co_ci_u32_e32 v9, vcc_lo, 0, v7, vcc_lo
	v_mul_lo_u32 v10, s19, v4
	v_mad_u64_u32 v[7:8], null, s18, v4, 0
	v_mul_lo_u32 v11, s18, v9
	v_sub_co_u32 v7, vcc_lo, v5, v7
	v_add3_u32 v8, v8, v11, v10
	v_sub_nc_u32_e32 v10, v6, v8
	v_subrev_co_ci_u32_e64 v10, s0, s19, v10, vcc_lo
	v_add_co_u32 v11, s0, v4, 2
	v_add_co_ci_u32_e64 v12, s0, 0, v9, s0
	v_sub_co_u32 v13, s0, v7, s18
	v_sub_co_ci_u32_e32 v8, vcc_lo, v6, v8, vcc_lo
	v_subrev_co_ci_u32_e64 v10, s0, 0, v10, s0
	v_cmp_le_u32_e32 vcc_lo, s18, v13
	v_cmp_eq_u32_e64 s0, s19, v8
	v_cndmask_b32_e64 v13, 0, -1, vcc_lo
	v_cmp_le_u32_e32 vcc_lo, s19, v10
	v_cndmask_b32_e64 v14, 0, -1, vcc_lo
	v_cmp_le_u32_e32 vcc_lo, s18, v7
	;; [unrolled: 2-line block ×3, first 2 shown]
	v_cndmask_b32_e64 v15, 0, -1, vcc_lo
	v_cmp_eq_u32_e32 vcc_lo, s19, v10
	v_cndmask_b32_e64 v7, v15, v7, s0
	v_cndmask_b32_e32 v10, v14, v13, vcc_lo
	v_add_co_u32 v13, vcc_lo, v4, 1
	v_add_co_ci_u32_e32 v14, vcc_lo, 0, v9, vcc_lo
	v_cmp_ne_u32_e32 vcc_lo, 0, v10
	v_cndmask_b32_e32 v8, v14, v12, vcc_lo
	v_cndmask_b32_e32 v10, v13, v11, vcc_lo
	v_cmp_ne_u32_e32 vcc_lo, 0, v7
	v_cndmask_b32_e32 v8, v9, v8, vcc_lo
	v_cndmask_b32_e32 v7, v4, v10, vcc_lo
.LBB0_4:                                ;   in Loop: Header=BB0_2 Depth=1
	s_andn2_saveexec_b32 s0, s1
	s_cbranch_execz .LBB0_6
; %bb.5:                                ;   in Loop: Header=BB0_2 Depth=1
	v_cvt_f32_u32_e32 v4, s18
	s_sub_i32 s1, 0, s18
	v_rcp_iflag_f32_e32 v4, v4
	v_mul_f32_e32 v4, 0x4f7ffffe, v4
	v_cvt_u32_f32_e32 v4, v4
	v_mul_lo_u32 v7, s1, v4
	v_mul_hi_u32 v7, v4, v7
	v_add_nc_u32_e32 v4, v4, v7
	v_mul_hi_u32 v4, v5, v4
	v_mul_lo_u32 v7, v4, s18
	v_add_nc_u32_e32 v8, 1, v4
	v_sub_nc_u32_e32 v7, v5, v7
	v_subrev_nc_u32_e32 v9, s18, v7
	v_cmp_le_u32_e32 vcc_lo, s18, v7
	v_cndmask_b32_e32 v7, v7, v9, vcc_lo
	v_cndmask_b32_e32 v4, v4, v8, vcc_lo
	v_cmp_le_u32_e32 vcc_lo, s18, v7
	v_add_nc_u32_e32 v8, 1, v4
	v_cndmask_b32_e32 v7, v4, v8, vcc_lo
	v_mov_b32_e32 v8, v3
.LBB0_6:                                ;   in Loop: Header=BB0_2 Depth=1
	s_or_b32 exec_lo, exec_lo, s0
	s_load_dwordx2 s[0:1], s[6:7], 0x0
	v_mul_lo_u32 v4, v8, s18
	v_mul_lo_u32 v11, v7, s19
	v_mad_u64_u32 v[9:10], null, v7, s18, 0
	s_add_u32 s16, s16, 1
	s_addc_u32 s17, s17, 0
	s_add_u32 s6, s6, 8
	s_addc_u32 s7, s7, 0
	;; [unrolled: 2-line block ×3, first 2 shown]
	v_add3_u32 v4, v10, v11, v4
	v_sub_co_u32 v5, vcc_lo, v5, v9
	v_sub_co_ci_u32_e32 v4, vcc_lo, v6, v4, vcc_lo
	s_waitcnt lgkmcnt(0)
	v_mul_lo_u32 v6, s1, v5
	v_mul_lo_u32 v4, s0, v4
	v_mad_u64_u32 v[1:2], null, s0, v5, v[1:2]
	v_cmp_ge_u64_e64 s0, s[16:17], s[10:11]
	s_and_b32 vcc_lo, exec_lo, s0
	v_add3_u32 v2, v6, v2, v4
	s_cbranch_vccnz .LBB0_9
; %bb.7:                                ;   in Loop: Header=BB0_2 Depth=1
	v_mov_b32_e32 v5, v7
	v_mov_b32_e32 v6, v8
	s_branch .LBB0_2
.LBB0_8:
	v_mov_b32_e32 v8, v6
	v_mov_b32_e32 v7, v5
.LBB0_9:
	s_lshl_b64 s[0:1], s[10:11], 3
	v_mul_hi_u32 v5, 0x1818182, v0
	s_add_u32 s0, s12, s0
	s_addc_u32 s1, s13, s1
	s_load_dwordx2 s[0:1], s[0:1], 0x0
	s_load_dwordx2 s[4:5], s[4:5], 0x20
	s_waitcnt lgkmcnt(0)
	v_mul_lo_u32 v3, s0, v8
	v_mul_lo_u32 v4, s1, v7
	v_mad_u64_u32 v[1:2], null, s0, v7, v[1:2]
	v_cmp_gt_u64_e32 vcc_lo, s[4:5], v[7:8]
	v_add3_u32 v2, v4, v2, v3
	v_mul_u32_u24_e32 v4, 0xaa, v5
	v_lshlrev_b64 v[2:3], 2, v[1:2]
	v_sub_nc_u32_e32 v0, v0, v4
	s_and_saveexec_b32 s1, vcc_lo
	s_cbranch_execz .LBB0_13
; %bb.10:
	v_mov_b32_e32 v1, 0
	v_add_co_u32 v4, s0, s2, v2
	v_add_co_ci_u32_e64 v5, s0, s3, v3, s0
	v_lshlrev_b64 v[6:7], 2, v[0:1]
	s_mov_b32 s4, exec_lo
	v_add_co_u32 v6, s0, v4, v6
	v_add_co_ci_u32_e64 v7, s0, v5, v7, s0
	v_add_co_u32 v8, s0, 0x800, v6
	v_add_co_ci_u32_e64 v9, s0, 0, v7, s0
	;; [unrolled: 2-line block ×3, first 2 shown]
	s_clause 0x9
	global_load_dword v12, v[6:7], off
	global_load_dword v13, v[6:7], off offset:680
	global_load_dword v14, v[6:7], off offset:1360
	;; [unrolled: 1-line block ×9, first 2 shown]
	v_lshl_add_u32 v11, v0, 2, 0
	v_add_nc_u32_e32 v17, 0x400, v11
	v_add_nc_u32_e32 v18, 0xa00, v11
	;; [unrolled: 1-line block ×4, first 2 shown]
	s_waitcnt vmcnt(8)
	ds_write2_b32 v11, v12, v13 offset1:170
	s_waitcnt vmcnt(6)
	ds_write2_b32 v17, v14, v6 offset0:84 offset1:254
	s_waitcnt vmcnt(4)
	ds_write2_b32 v18, v7, v15 offset0:40 offset1:210
	;; [unrolled: 2-line block ×4, first 2 shown]
	v_cmpx_eq_u32_e32 0xa9, v0
	s_cbranch_execz .LBB0_12
; %bb.11:
	v_add_co_u32 v4, s0, 0x1800, v4
	v_add_co_ci_u32_e64 v5, s0, 0, v5, s0
	v_mov_b32_e32 v0, 0xa9
	global_load_dword v4, v[4:5], off offset:656
	s_waitcnt vmcnt(0)
	ds_write_b32 v1, v4 offset:6800
.LBB0_12:
	s_or_b32 exec_lo, exec_lo, s4
.LBB0_13:
	s_or_b32 exec_lo, exec_lo, s1
	v_lshlrev_b32_e32 v1, 2, v0
	s_waitcnt lgkmcnt(0)
	s_barrier
	buffer_gl0_inv
	s_add_u32 s1, s8, 0x1a4c
	v_add_nc_u32_e32 v20, 0, v1
	v_sub_nc_u32_e32 v6, 0, v1
	s_addc_u32 s4, s9, 0
	s_mov_b32 s5, exec_lo
                                        ; implicit-def: $vgpr4_vgpr5
	ds_read_u16 v9, v20
	ds_read_u16 v10, v6 offset:6800
	s_waitcnt lgkmcnt(0)
	v_add_f16_e32 v8, v10, v9
	v_sub_f16_e32 v7, v9, v10
	v_cmpx_ne_u32_e32 0, v0
	s_xor_b32 s5, exec_lo, s5
	s_cbranch_execz .LBB0_15
; %bb.14:
	v_mov_b32_e32 v1, 0
	v_add_f16_e32 v8, v10, v9
	v_sub_f16_e32 v9, v9, v10
	v_lshlrev_b64 v[4:5], 2, v[0:1]
	v_add_co_u32 v4, s0, s1, v4
	v_add_co_ci_u32_e64 v5, s0, s4, v5, s0
	global_load_dword v4, v[4:5], off
	ds_read_u16 v5, v6 offset:6802
	ds_read_u16 v7, v20 offset:2
	s_waitcnt lgkmcnt(0)
	v_add_f16_e32 v10, v5, v7
	v_sub_f16_e32 v5, v7, v5
	s_waitcnt vmcnt(0)
	v_lshrrev_b32_e32 v11, 16, v4
	v_fma_f16 v12, -v9, v11, v8
	v_fma_f16 v13, v10, v11, -v5
	v_fma_f16 v7, v10, v11, v5
	v_fma_f16 v8, v9, v11, v8
	v_fmac_f16_e32 v12, v4, v10
	v_fmac_f16_e32 v13, v9, v4
	v_fmac_f16_e32 v7, v9, v4
	v_fma_f16 v8, -v4, v10, v8
	v_mov_b32_e32 v5, v1
	v_mov_b32_e32 v4, v0
	v_pack_b32_f16 v9, v12, v13
	ds_write_b32 v6, v9 offset:6800
.LBB0_15:
	s_andn2_saveexec_b32 s0, s5
	s_cbranch_execz .LBB0_17
; %bb.16:
	v_mov_b32_e32 v1, 0
	ds_read_b32 v4, v1 offset:3400
	s_waitcnt lgkmcnt(0)
	v_pk_mul_f16 v9, 0xc0004000, v4
	v_mov_b32_e32 v4, 0
	v_mov_b32_e32 v5, 0
	ds_write_b32 v1, v9 offset:3400
.LBB0_17:
	s_or_b32 exec_lo, exec_lo, s0
	v_lshlrev_b64 v[4:5], 2, v[4:5]
	v_add_nc_u32_e32 v21, 0x1400, v20
	v_add_co_u32 v4, s0, s1, v4
	v_add_co_ci_u32_e64 v5, s0, s4, v5, s0
	s_mov_b32 s1, exec_lo
	s_clause 0x2
	global_load_dword v1, v[4:5], off offset:680
	global_load_dword v9, v[4:5], off offset:1360
	;; [unrolled: 1-line block ×3, first 2 shown]
	v_add_co_u32 v4, s0, 0x800, v4
	v_add_co_ci_u32_e64 v5, s0, 0, v5, s0
	global_load_dword v4, v[4:5], off offset:672
	v_perm_b32 v5, v7, v8, 0x5040100
	ds_write_b32 v20, v5
	ds_read_b32 v5, v20 offset:680
	ds_read_b32 v7, v6 offset:6120
	s_waitcnt lgkmcnt(0)
	v_add_f16_e32 v8, v5, v7
	v_add_f16_sdwa v11, v7, v5 dst_sel:DWORD dst_unused:UNUSED_PAD src0_sel:WORD_1 src1_sel:WORD_1
	v_sub_f16_e32 v12, v5, v7
	v_sub_f16_sdwa v5, v5, v7 dst_sel:DWORD dst_unused:UNUSED_PAD src0_sel:WORD_1 src1_sel:WORD_1
	s_waitcnt vmcnt(3)
	v_lshrrev_b32_e32 v13, 16, v1
	v_fma_f16 v7, v12, v13, v8
	v_fma_f16 v14, v11, v13, v5
	v_fma_f16 v8, -v12, v13, v8
	v_fma_f16 v5, v11, v13, -v5
	v_fma_f16 v7, -v1, v11, v7
	v_fmac_f16_e32 v14, v12, v1
	v_fmac_f16_e32 v8, v1, v11
	;; [unrolled: 1-line block ×3, first 2 shown]
	v_pack_b32_f16 v1, v7, v14
	s_waitcnt vmcnt(2)
	v_lshrrev_b32_e32 v7, 16, v9
	v_pack_b32_f16 v5, v8, v5
	ds_write_b32 v20, v1 offset:680
	ds_write_b32 v6, v5 offset:6120
	ds_read_b32 v1, v20 offset:1360
	ds_read_b32 v5, v6 offset:5440
	s_waitcnt lgkmcnt(0)
	v_add_f16_e32 v8, v1, v5
	v_add_f16_sdwa v11, v5, v1 dst_sel:DWORD dst_unused:UNUSED_PAD src0_sel:WORD_1 src1_sel:WORD_1
	v_sub_f16_e32 v12, v1, v5
	v_sub_f16_sdwa v1, v1, v5 dst_sel:DWORD dst_unused:UNUSED_PAD src0_sel:WORD_1 src1_sel:WORD_1
	v_fma_f16 v5, v12, v7, v8
	v_fma_f16 v13, v11, v7, v1
	v_fma_f16 v8, -v12, v7, v8
	v_fma_f16 v1, v11, v7, -v1
	s_waitcnt vmcnt(1)
	v_lshrrev_b32_e32 v7, 16, v10
	v_fma_f16 v5, -v9, v11, v5
	v_fmac_f16_e32 v13, v12, v9
	v_fmac_f16_e32 v8, v9, v11
	;; [unrolled: 1-line block ×3, first 2 shown]
	v_pack_b32_f16 v5, v5, v13
	v_pack_b32_f16 v1, v8, v1
	ds_write_b32 v20, v5 offset:1360
	ds_write_b32 v6, v1 offset:5440
	ds_read_b32 v1, v20 offset:2040
	ds_read_b32 v5, v6 offset:4760
	s_waitcnt lgkmcnt(0)
	v_add_f16_e32 v8, v1, v5
	v_add_f16_sdwa v9, v5, v1 dst_sel:DWORD dst_unused:UNUSED_PAD src0_sel:WORD_1 src1_sel:WORD_1
	v_sub_f16_e32 v11, v1, v5
	v_sub_f16_sdwa v1, v1, v5 dst_sel:DWORD dst_unused:UNUSED_PAD src0_sel:WORD_1 src1_sel:WORD_1
	v_fma_f16 v5, v11, v7, v8
	v_fma_f16 v12, v9, v7, v1
	v_fma_f16 v8, -v11, v7, v8
	v_fma_f16 v1, v9, v7, -v1
	s_waitcnt vmcnt(0)
	v_lshrrev_b32_e32 v7, 16, v4
	v_fma_f16 v5, -v10, v9, v5
	v_fmac_f16_e32 v12, v11, v10
	v_fmac_f16_e32 v8, v10, v9
	;; [unrolled: 1-line block ×3, first 2 shown]
	v_pack_b32_f16 v5, v5, v12
	v_add_nc_u32_e32 v12, 0x200, v20
	v_pack_b32_f16 v1, v8, v1
	ds_write_b32 v20, v5 offset:2040
	ds_write_b32 v6, v1 offset:4760
	ds_read_b32 v1, v20 offset:2720
	ds_read_b32 v5, v6 offset:4080
	s_waitcnt lgkmcnt(0)
	v_add_f16_e32 v8, v1, v5
	v_add_f16_sdwa v9, v5, v1 dst_sel:DWORD dst_unused:UNUSED_PAD src0_sel:WORD_1 src1_sel:WORD_1
	v_sub_f16_e32 v10, v1, v5
	v_sub_f16_sdwa v1, v1, v5 dst_sel:DWORD dst_unused:UNUSED_PAD src0_sel:WORD_1 src1_sel:WORD_1
	v_fma_f16 v5, v10, v7, v8
	v_fma_f16 v11, v9, v7, v1
	v_fma_f16 v8, -v10, v7, v8
	v_fma_f16 v7, v9, v7, -v1
	v_add_nc_u32_e32 v1, 0x400, v20
	v_fma_f16 v5, -v4, v9, v5
	v_fmac_f16_e32 v11, v10, v4
	v_fmac_f16_e32 v8, v4, v9
	v_fmac_f16_e32 v7, v10, v4
	v_add_nc_u32_e32 v9, 0x800, v20
	v_add_nc_u32_e32 v10, 0xc00, v20
	v_pack_b32_f16 v4, v5, v11
	v_pack_b32_f16 v5, v8, v7
	v_add_nc_u32_e32 v7, 0xe00, v20
	v_add_nc_u32_e32 v8, 0x1200, v20
	ds_write_b32 v20, v4 offset:2720
	ds_write_b32 v6, v5 offset:4080
	s_waitcnt lgkmcnt(0)
	s_barrier
	buffer_gl0_inv
	s_barrier
	buffer_gl0_inv
	ds_read2_b32 v[4:5], v20 offset1:100
	ds_read2_b32 v[18:19], v12 offset0:72 offset1:172
	ds_read2_b32 v[16:17], v1 offset0:144 offset1:244
	;; [unrolled: 1-line block ×7, first 2 shown]
	ds_read_b32 v56, v20 offset:6400
	s_waitcnt lgkmcnt(0)
	s_barrier
	buffer_gl0_inv
	v_cmpx_gt_u32_e32 0x64, v0
	s_cbranch_execz .LBB0_19
; %bb.18:
	v_pk_add_f16 v22, v4, v5
	v_pk_add_f16 v33, v56, v5
	v_pk_add_f16 v26, v5, v56 neg_lo:[0,1] neg_hi:[0,1]
	v_pk_add_f16 v29, v8, v17
	v_pk_add_f16 v32, v7, v18
	;; [unrolled: 1-line block ×3, first 2 shown]
	v_pk_add_f16 v22, v17, v8 neg_lo:[0,1] neg_hi:[0,1]
	v_pk_add_f16 v25, v18, v7 neg_lo:[0,1] neg_hi:[0,1]
	v_pk_add_f16 v28, v11, v14
	v_pk_add_f16 v18, v14, v11 neg_lo:[0,1] neg_hi:[0,1]
	v_pk_add_f16 v5, v5, v19
	v_pk_add_f16 v31, v6, v19
	v_pk_add_f16 v24, v19, v6 neg_lo:[0,1] neg_hi:[0,1]
	v_pk_add_f16 v19, v13, v12
	v_mov_b32_e32 v47, 0x3722
	v_pk_add_f16 v34, v5, v16
	v_pk_add_f16 v5, v12, v13 neg_lo:[0,1] neg_hi:[0,1]
	v_pk_add_f16 v30, v9, v16
	v_pk_add_f16 v23, v16, v9 neg_lo:[0,1] neg_hi:[0,1]
	v_pk_add_f16 v27, v10, v15
	v_pk_add_f16 v17, v34, v17
	v_pk_add_f16 v16, v15, v10 neg_lo:[0,1] neg_hi:[0,1]
	v_mov_b32_e32 v45, 0xb8d2
	v_mul_f16_sdwa v43, v33, v47 dst_sel:DWORD dst_unused:UNUSED_PAD src0_sel:WORD_1 src1_sel:DWORD
	v_mov_b32_e32 v51, 0xbbdd
	v_pk_add_f16 v14, v17, v14
	v_mov_b32_e32 v52, 0xb461
	v_mul_f16_sdwa v42, v32, v45 dst_sel:DWORD dst_unused:UNUSED_PAD src0_sel:WORD_1 src1_sel:DWORD
	v_fmamk_f16 v36, v26, 0x3b29, v43
	v_mul_f16_sdwa v41, v31, v51 dst_sel:DWORD dst_unused:UNUSED_PAD src0_sel:WORD_1 src1_sel:DWORD
	v_pk_add_f16 v14, v14, v15
	v_pk_mul_f16 v15, 0xb964, v25 op_sel_hi:[0,1]
	v_pk_mul_f16 v17, 0xbb29, v24 op_sel_hi:[0,1]
	v_fmamk_f16 v37, v25, 0x3a62, v42
	v_mov_b32_e32 v44, 0x39e9
	v_pk_add_f16 v12, v14, v12
	v_pk_mul_f16 v14, 0xb5c8, v26 op_sel_hi:[0,1]
	v_mul_f16_sdwa v40, v30, v52 dst_sel:DWORD dst_unused:UNUSED_PAD src0_sel:WORD_1 src1_sel:DWORD
	v_pk_mul_f16 v34, 0xbbf7, v23 op_sel_hi:[0,1]
	v_fmamk_f16 v38, v24, 0xb1e1, v41
	v_pk_add_f16 v12, v12, v13
	v_pk_fma_f16 v13, 0x3b76, v33, v14 op_sel:[0,0,1] op_sel_hi:[0,1,0]
	v_pk_fma_f16 v14, 0x3b76, v33, v14 op_sel:[0,0,1] op_sel_hi:[0,1,0] neg_lo:[0,0,1] neg_hi:[0,0,1]
	v_mov_b32_e32 v48, 0x3b76
	v_mul_f16_sdwa v39, v29, v44 dst_sel:DWORD dst_unused:UNUSED_PAD src0_sel:WORD_1 src1_sel:DWORD
	v_pk_add_f16 v10, v12, v10
	v_pk_fma_f16 v12, 0x39e9, v32, v15 op_sel:[0,0,1] op_sel_hi:[0,1,0] neg_lo:[0,0,1] neg_hi:[0,0,1]
	v_bfi_b32 v54, 0xffff, v13, v14
	v_pk_mul_f16 v35, 0xbbb2, v22 op_sel_hi:[0,1]
	v_fmamk_f16 v50, v23, 0xbbb2, v40
	v_pk_add_f16 v11, v10, v11
	v_pk_fma_f16 v10, 0x39e9, v32, v15 op_sel:[0,0,1] op_sel_hi:[0,1,0]
	v_add_f16_sdwa v15, v4, v36 dst_sel:DWORD dst_unused:UNUSED_PAD src0_sel:WORD_1 src1_sel:DWORD
	v_fmamk_f16 v53, v22, 0xb964, v39
	v_mov_b32_e32 v49, 0x2de8
	v_pk_add_f16 v36, v11, v8
	v_pk_fma_f16 v8, 0x3722, v31, v17 op_sel:[0,0,1] op_sel_hi:[0,1,0]
	v_pk_fma_f16 v11, 0x3722, v31, v17 op_sel:[0,0,1] op_sel_hi:[0,1,0] neg_lo:[0,0,1] neg_hi:[0,0,1]
	v_add_f16_e32 v15, v37, v15
	v_pk_add_f16 v37, v4, v54
	v_pk_add_f16 v17, v36, v9
	v_bfi_b32 v36, 0xffff, v10, v12
	v_pk_fma_f16 v9, 0x2de8, v30, v34 op_sel:[0,0,1] op_sel_hi:[0,1,0]
	v_add_f16_e32 v15, v38, v15
	v_bfi_b32 v38, 0xffff, v8, v11
	v_pk_add_f16 v17, v17, v6
	v_pk_add_f16 v36, v36, v37
	v_pk_fma_f16 v6, 0x2de8, v30, v34 op_sel:[0,0,1] op_sel_hi:[0,1,0] neg_lo:[0,0,1] neg_hi:[0,0,1]
	v_add_f16_e32 v34, v50, v15
	v_mul_f16_sdwa v54, v28, v48 dst_sel:DWORD dst_unused:UNUSED_PAD src0_sel:WORD_1 src1_sel:DWORD
	v_pk_add_f16 v57, v17, v7
	v_pk_add_f16 v17, v38, v36
	v_bfi_b32 v36, 0xffff, v9, v6
	v_pk_fma_f16 v7, 0xb461, v29, v35 op_sel:[0,0,1] op_sel_hi:[0,1,0]
	v_pk_fma_f16 v15, 0xb461, v29, v35 op_sel:[0,0,1] op_sel_hi:[0,1,0] neg_lo:[0,0,1] neg_hi:[0,0,1]
	v_pk_mul_f16 v35, 0xba62, v18 op_sel_hi:[0,1]
	v_add_f16_e32 v37, v53, v34
	v_fmamk_f16 v38, v18, 0x35c8, v54
	v_pk_add_f16 v36, v36, v17
	v_bfi_b32 v53, 0xffff, v7, v15
	v_pk_fma_f16 v17, 0xb8d2, v28, v35 op_sel:[0,0,1] op_sel_hi:[0,1,0]
	v_pk_fma_f16 v34, 0xb8d2, v28, v35 op_sel:[0,0,1] op_sel_hi:[0,1,0] neg_lo:[0,0,1] neg_hi:[0,0,1]
	v_pk_mul_f16 v55, 0xb836, v16 op_sel_hi:[0,1]
	v_mov_b32_e32 v62, 0xbb29
	v_add_f16_e32 v58, v38, v37
	v_mul_f16_sdwa v50, v27, v49 dst_sel:DWORD dst_unused:UNUSED_PAD src0_sel:WORD_1 src1_sel:DWORD
	v_pk_add_f16 v37, v53, v36
	v_bfi_b32 v38, 0xffff, v17, v34
	v_pk_fma_f16 v35, 0xbacd, v27, v55 op_sel:[0,0,1] op_sel_hi:[0,1,0]
	v_pk_fma_f16 v36, 0xbacd, v27, v55 op_sel:[0,0,1] op_sel_hi:[0,1,0] neg_lo:[0,0,1] neg_hi:[0,0,1]
	v_pk_mul_f16 v59, 0xb1e1, v5 op_sel_hi:[0,1]
	v_mul_f16_sdwa v55, v26, v62 dst_sel:DWORD dst_unused:UNUSED_PAD src0_sel:WORD_1 src1_sel:DWORD
	v_mov_b32_e32 v71, 0xba62
	v_mov_b32_e32 v46, 0xbacd
	v_fmamk_f16 v60, v16, 0x3bf7, v50
	v_pk_add_f16 v64, v38, v37
	v_pk_fma_f16 v37, 0xbbdd, v19, v59 op_sel:[0,0,1] op_sel_hi:[0,1,0]
	v_pk_fma_f16 v38, 0xbbdd, v19, v59 op_sel:[0,0,1] op_sel_hi:[0,1,0] neg_lo:[0,0,1] neg_hi:[0,0,1]
	v_fmamk_f16 v59, v33, 0x3722, v55
	v_mul_f16_sdwa v61, v25, v71 dst_sel:DWORD dst_unused:UNUSED_PAD src0_sel:WORD_1 src1_sel:DWORD
	v_mov_b32_e32 v63, 0x31e1
	v_mul_f16_sdwa v53, v19, v46 dst_sel:DWORD dst_unused:UNUSED_PAD src0_sel:WORD_1 src1_sel:DWORD
	v_bfi_b32 v65, 0xffff, v35, v36
	v_add_f16_e32 v58, v60, v58
	v_add_f16_e32 v59, v4, v59
	v_fmamk_f16 v60, v32, 0xb8d2, v61
	v_mul_f16_sdwa v63, v24, v63 dst_sel:DWORD dst_unused:UNUSED_PAD src0_sel:WORD_1 src1_sel:DWORD
	v_mov_b32_e32 v84, 0x3bb2
	v_fmamk_f16 v66, v5, 0x3836, v53
	v_pk_add_f16 v68, v65, v64
	v_add_f16_e32 v59, v60, v59
	v_fmamk_f16 v64, v31, 0xbbdd, v63
	v_mul_f16_sdwa v60, v23, v84 dst_sel:DWORD dst_unused:UNUSED_PAD src0_sel:WORD_1 src1_sel:DWORD
	v_mov_b32_e32 v85, 0x3964
	v_pk_add_f16 v82, v57, v56
	v_mov_b32_e32 v86, 0xb5c8
	v_add_f16_e32 v59, v64, v59
	v_fmamk_f16 v64, v30, 0xb461, v60
	v_mul_f16_sdwa v57, v22, v85 dst_sel:DWORD dst_unused:UNUSED_PAD src0_sel:WORD_1 src1_sel:DWORD
	v_add_f16_e32 v83, v66, v58
	v_mul_f16_sdwa v66, v33, v44 dst_sel:DWORD dst_unused:UNUSED_PAD src0_sel:WORD_1 src1_sel:DWORD
	v_mov_b32_e32 v87, 0xbbf7
	v_add_f16_e32 v58, v64, v59
	v_fmamk_f16 v65, v29, 0x39e9, v57
	v_mul_f16_sdwa v59, v18, v86 dst_sel:DWORD dst_unused:UNUSED_PAD src0_sel:WORD_1 src1_sel:DWORD
	v_fmamk_f16 v67, v26, 0x3964, v66
	v_mul_f16_sdwa v64, v32, v49 dst_sel:DWORD dst_unused:UNUSED_PAD src0_sel:WORD_1 src1_sel:DWORD
	v_mov_b32_e32 v88, 0xb964
	v_add_f16_e32 v70, v65, v58
	v_fmamk_f16 v72, v28, 0x3b76, v59
	v_mul_f16_sdwa v58, v16, v87 dst_sel:DWORD dst_unused:UNUSED_PAD src0_sel:WORD_1 src1_sel:DWORD
	v_add_f16_sdwa v67, v4, v67 dst_sel:DWORD dst_unused:UNUSED_PAD src0_sel:WORD_1 src1_sel:DWORD
	v_fmamk_f16 v73, v25, 0x3bf7, v64
	v_mul_f16_sdwa v65, v31, v45 dst_sel:DWORD dst_unused:UNUSED_PAD src0_sel:WORD_1 src1_sel:DWORD
	v_bfi_b32 v69, 0xffff, v37, v38
	v_add_f16_e32 v70, v72, v70
	v_fmamk_f16 v72, v27, 0x2de8, v58
	v_add_f16_e32 v73, v73, v67
	v_fmamk_f16 v75, v24, 0x3a62, v65
	v_mul_f16_sdwa v67, v30, v51 dst_sel:DWORD dst_unused:UNUSED_PAD src0_sel:WORD_1 src1_sel:DWORD
	v_mul_f16_sdwa v74, v26, v88 dst_sel:DWORD dst_unused:UNUSED_PAD src0_sel:WORD_1 src1_sel:DWORD
	v_pk_add_f16 v89, v69, v68
	v_add_f16_e32 v90, v72, v70
	v_add_f16_e32 v69, v75, v73
	v_fmamk_f16 v70, v23, 0x31e1, v67
	v_mul_f16_sdwa v68, v29, v46 dst_sel:DWORD dst_unused:UNUSED_PAD src0_sel:WORD_1 src1_sel:DWORD
	v_fmamk_f16 v72, v33, 0x39e9, v74
	v_mul_f16_sdwa v75, v25, v87 dst_sel:DWORD dst_unused:UNUSED_PAD src0_sel:WORD_1 src1_sel:DWORD
	v_mul_f16_sdwa v77, v24, v71 dst_sel:DWORD dst_unused:UNUSED_PAD src0_sel:WORD_1 src1_sel:DWORD
	v_add_f16_e32 v69, v70, v69
	v_fmamk_f16 v70, v22, 0xb836, v68
	v_add_f16_e32 v72, v4, v72
	v_fmamk_f16 v73, v32, 0x2de8, v75
	v_mov_b32_e32 v92, 0xb1e1
	v_mov_b32_e32 v93, 0x3836
	v_add_f16_e32 v76, v70, v69
	v_mul_f16_sdwa v69, v28, v52 dst_sel:DWORD dst_unused:UNUSED_PAD src0_sel:WORD_1 src1_sel:DWORD
	v_add_f16_e32 v72, v73, v72
	v_fmamk_f16 v73, v31, 0xb8d2, v77
	v_mul_f16_sdwa v78, v23, v92 dst_sel:DWORD dst_unused:UNUSED_PAD src0_sel:WORD_1 src1_sel:DWORD
	v_mul_f16_sdwa v70, v27, v47 dst_sel:DWORD dst_unused:UNUSED_PAD src0_sel:WORD_1 src1_sel:DWORD
	v_fmamk_f16 v79, v18, 0xbbb2, v69
	v_mul_f16_sdwa v80, v22, v93 dst_sel:DWORD dst_unused:UNUSED_PAD src0_sel:WORD_1 src1_sel:DWORD
	v_add_f16_e32 v72, v73, v72
	v_fmamk_f16 v81, v30, 0xbbdd, v78
	v_mov_b32_e32 v91, 0xb836
	v_add_f16_e32 v76, v79, v76
	v_fmamk_f16 v79, v16, 0xbb29, v70
	v_fmamk_f16 v94, v29, 0xbacd, v80
	v_add_f16_e32 v72, v81, v72
	v_mul_f16_sdwa v81, v18, v84 dst_sel:DWORD dst_unused:UNUSED_PAD src0_sel:WORD_1 src1_sel:DWORD
	v_mov_b32_e32 v95, 0x3b29
	v_mul_f16_sdwa v73, v5, v91 dst_sel:DWORD dst_unused:UNUSED_PAD src0_sel:WORD_1 src1_sel:DWORD
	v_add_f16_e32 v97, v79, v76
	v_add_f16_e32 v72, v94, v72
	v_fmamk_f16 v94, v28, 0xb461, v81
	v_mul_f16_sdwa v76, v16, v95 dst_sel:DWORD dst_unused:UNUSED_PAD src0_sel:WORD_1 src1_sel:DWORD
	v_mov_b32_e32 v98, 0x35c8
	v_mul_f16_sdwa v99, v33, v46 dst_sel:DWORD dst_unused:UNUSED_PAD src0_sel:WORD_1 src1_sel:DWORD
	v_fmamk_f16 v96, v19, 0xbacd, v73
	v_mul_f16_sdwa v79, v19, v48 dst_sel:DWORD dst_unused:UNUSED_PAD src0_sel:WORD_1 src1_sel:DWORD
	v_add_f16_e32 v94, v94, v72
	v_fmamk_f16 v100, v27, 0x3722, v76
	v_mul_f16_sdwa v72, v5, v98 dst_sel:DWORD dst_unused:UNUSED_PAD src0_sel:WORD_1 src1_sel:DWORD
	v_fmamk_f16 v101, v26, 0x3836, v99
	v_mul_f16_sdwa v102, v32, v47 dst_sel:DWORD dst_unused:UNUSED_PAD src0_sel:WORD_1 src1_sel:DWORD
	v_fmamk_f16 v103, v5, 0xb5c8, v79
	v_add_f16_e32 v94, v100, v94
	v_fmamk_f16 v100, v19, 0x3b76, v72
	v_add_f16_sdwa v101, v4, v101 dst_sel:DWORD dst_unused:UNUSED_PAD src0_sel:WORD_1 src1_sel:DWORD
	v_fmamk_f16 v104, v25, 0xbb29, v102
	v_mul_f16_sdwa v105, v31, v49 dst_sel:DWORD dst_unused:UNUSED_PAD src0_sel:WORD_1 src1_sel:DWORD
	v_add_f16_e32 v90, v96, v90
	v_lshl_add_u32 v56, v0, 6, v20
	v_add_f16_e32 v96, v103, v97
	v_add_f16_e32 v94, v100, v94
	;; [unrolled: 1-line block ×3, first 2 shown]
	v_fmamk_f16 v100, v24, 0x3bf7, v105
	v_mul_f16_sdwa v101, v30, v45 dst_sel:DWORD dst_unused:UNUSED_PAD src0_sel:WORD_1 src1_sel:DWORD
	v_pack_b32_f16 v83, v90, v83
	v_mul_f16_sdwa v90, v26, v91 dst_sel:DWORD dst_unused:UNUSED_PAD src0_sel:WORD_1 src1_sel:DWORD
	v_pack_b32_f16 v94, v94, v96
	v_add_f16_e32 v96, v100, v97
	v_fmamk_f16 v97, v23, 0xba62, v101
	ds_write2_b32 v56, v82, v89 offset1:1
	v_fmamk_f16 v82, v33, 0xbacd, v90
	v_mul_f16_sdwa v89, v25, v95 dst_sel:DWORD dst_unused:UNUSED_PAD src0_sel:WORD_1 src1_sel:DWORD
	ds_write2_b32 v56, v94, v83 offset0:2 offset1:3
	v_add_f16_e32 v83, v97, v96
	v_mul_f16_sdwa v94, v29, v48 dst_sel:DWORD dst_unused:UNUSED_PAD src0_sel:WORD_1 src1_sel:DWORD
	v_add_f16_e32 v82, v4, v82
	v_fmamk_f16 v96, v32, 0x3722, v89
	v_mul_f16_sdwa v97, v24, v87 dst_sel:DWORD dst_unused:UNUSED_PAD src0_sel:WORD_1 src1_sel:DWORD
	v_mov_b32_e32 v100, 0x3a62
	v_fmamk_f16 v103, v22, 0x35c8, v94
	v_mul_f16_sdwa v104, v28, v51 dst_sel:DWORD dst_unused:UNUSED_PAD src0_sel:WORD_1 src1_sel:DWORD
	v_add_f16_e32 v82, v96, v82
	v_fmamk_f16 v96, v31, 0x2de8, v97
	v_mul_f16_sdwa v106, v23, v100 dst_sel:DWORD dst_unused:UNUSED_PAD src0_sel:WORD_1 src1_sel:DWORD
	v_add_f16_e32 v83, v103, v83
	;; [unrolled: 3-line block ×9, first 2 shown]
	v_fmamk_f16 v112, v27, 0x39e9, v113
	v_mov_b32_e32 v114, 0xbbb2
	v_add_f16_sdwa v83, v4, v83 dst_sel:DWORD dst_unused:UNUSED_PAD src0_sel:WORD_1 src1_sel:DWORD
	v_fmamk_f16 v115, v25, 0xbbb2, v103
	v_mul_f16_sdwa v116, v31, v48 dst_sel:DWORD dst_unused:UNUSED_PAD src0_sel:WORD_1 src1_sel:DWORD
	v_add_f16_e32 v96, v112, v96
	v_mul_f16_sdwa v112, v26, v71 dst_sel:DWORD dst_unused:UNUSED_PAD src0_sel:WORD_1 src1_sel:DWORD
	v_mul_f16_sdwa v117, v5, v114 dst_sel:DWORD dst_unused:UNUSED_PAD src0_sel:WORD_1 src1_sel:DWORD
	v_add_f16_e32 v83, v115, v83
	v_fmamk_f16 v115, v24, 0x35c8, v116
	v_mul_f16_sdwa v118, v30, v46 dst_sel:DWORD dst_unused:UNUSED_PAD src0_sel:WORD_1 src1_sel:DWORD
	v_fmamk_f16 v119, v33, 0xb8d2, v112
	v_mul_f16_sdwa v120, v25, v84 dst_sel:DWORD dst_unused:UNUSED_PAD src0_sel:WORD_1 src1_sel:DWORD
	v_fmamk_f16 v121, v19, 0xb461, v117
	v_add_f16_e32 v115, v115, v83
	v_fmamk_f16 v122, v23, 0x3836, v118
	v_add_f16_e32 v119, v4, v119
	v_fmamk_f16 v123, v32, 0xb461, v120
	v_mul_f16_sdwa v124, v24, v86 dst_sel:DWORD dst_unused:UNUSED_PAD src0_sel:WORD_1 src1_sel:DWORD
	v_add_f16_e32 v83, v121, v96
	v_add_f16_e32 v96, v122, v115
	v_mul_f16_sdwa v115, v29, v49 dst_sel:DWORD dst_unused:UNUSED_PAD src0_sel:WORD_1 src1_sel:DWORD
	v_add_f16_e32 v119, v123, v119
	v_fmamk_f16 v121, v31, 0x3b76, v124
	v_mul_f16_sdwa v122, v23, v91 dst_sel:DWORD dst_unused:UNUSED_PAD src0_sel:WORD_1 src1_sel:DWORD
	v_mov_b32_e32 v123, 0x3bf7
	v_fmamk_f16 v125, v22, 0xbbf7, v115
	v_mul_f16_sdwa v126, v28, v44 dst_sel:DWORD dst_unused:UNUSED_PAD src0_sel:WORD_1 src1_sel:DWORD
	v_add_f16_e32 v119, v121, v119
	v_fmamk_f16 v121, v30, 0xbacd, v122
	v_mul_f16_sdwa v127, v22, v123 dst_sel:DWORD dst_unused:UNUSED_PAD src0_sel:WORD_1 src1_sel:DWORD
	v_add_f16_e32 v96, v125, v96
	;; [unrolled: 3-line block ×3, first 2 shown]
	v_fmamk_f16 v121, v29, 0x2de8, v127
	v_mul_f16_sdwa v129, v33, v52 dst_sel:DWORD dst_unused:UNUSED_PAD src0_sel:WORD_1 src1_sel:DWORD
	v_mul_f16_sdwa v88, v18, v88 dst_sel:DWORD dst_unused:UNUSED_PAD src0_sel:WORD_1 src1_sel:DWORD
	v_add_f16_e32 v96, v125, v96
	v_fmamk_f16 v125, v16, 0x31e1, v128
	v_add_f16_e32 v119, v121, v119
	v_fmamk_f16 v121, v26, 0x3bb2, v129
	v_mul_f16_sdwa v131, v32, v46 dst_sel:DWORD dst_unused:UNUSED_PAD src0_sel:WORD_1 src1_sel:DWORD
	v_mul_f16_sdwa v130, v19, v47 dst_sel:DWORD dst_unused:UNUSED_PAD src0_sel:WORD_1 src1_sel:DWORD
	v_fmamk_f16 v132, v28, 0x39e9, v88
	v_mul_f16_sdwa v133, v16, v92 dst_sel:DWORD dst_unused:UNUSED_PAD src0_sel:WORD_1 src1_sel:DWORD
	v_add_f16_e32 v96, v125, v96
	v_add_f16_sdwa v121, v4, v121 dst_sel:DWORD dst_unused:UNUSED_PAD src0_sel:WORD_1 src1_sel:DWORD
	v_fmamk_f16 v125, v25, 0xb836, v131
	v_mul_f16_sdwa v134, v31, v44 dst_sel:DWORD dst_unused:UNUSED_PAD src0_sel:WORD_1 src1_sel:DWORD
	v_fmamk_f16 v135, v5, 0xbb29, v130
	v_add_f16_e32 v119, v132, v119
	v_fmamk_f16 v132, v27, 0xbbdd, v133
	v_add_f16_e32 v121, v125, v121
	v_fmamk_f16 v125, v24, 0xb964, v134
	v_mul_f16_sdwa v136, v30, v47 dst_sel:DWORD dst_unused:UNUSED_PAD src0_sel:WORD_1 src1_sel:DWORD
	v_mul_f16_sdwa v114, v26, v114 dst_sel:DWORD dst_unused:UNUSED_PAD src0_sel:WORD_1 src1_sel:DWORD
	v_add_f16_e32 v96, v135, v96
	v_mul_f16_sdwa v135, v29, v51 dst_sel:DWORD dst_unused:UNUSED_PAD src0_sel:WORD_1 src1_sel:DWORD
	v_add_f16_e32 v121, v125, v121
	v_fmamk_f16 v125, v23, 0x3b29, v136
	v_add_f16_e32 v119, v132, v119
	v_fmamk_f16 v132, v33, 0xb461, v114
	v_mul_f16_sdwa v93, v25, v93 dst_sel:DWORD dst_unused:UNUSED_PAD src0_sel:WORD_1 src1_sel:DWORD
	v_mul_f16_sdwa v137, v28, v49 dst_sel:DWORD dst_unused:UNUSED_PAD src0_sel:WORD_1 src1_sel:DWORD
	v_add_f16_e32 v121, v125, v121
	v_fmamk_f16 v125, v22, 0x31e1, v135
	v_add_f16_e32 v132, v4, v132
	v_fmamk_f16 v138, v32, 0xbacd, v93
	v_mul_f16_sdwa v139, v24, v85 dst_sel:DWORD dst_unused:UNUSED_PAD src0_sel:WORD_1 src1_sel:DWORD
	v_mul_f16_sdwa v95, v5, v95 dst_sel:DWORD dst_unused:UNUSED_PAD src0_sel:WORD_1 src1_sel:DWORD
	v_add_f16_e32 v121, v125, v121
	v_fmamk_f16 v125, v18, 0xbbf7, v137
	v_mul_f16_sdwa v140, v27, v48 dst_sel:DWORD dst_unused:UNUSED_PAD src0_sel:WORD_1 src1_sel:DWORD
	v_add_f16_e32 v132, v138, v132
	v_fmamk_f16 v138, v31, 0x39e9, v139
	v_mul_f16_sdwa v141, v23, v62 dst_sel:DWORD dst_unused:UNUSED_PAD src0_sel:WORD_1 src1_sel:DWORD
	v_fmamk_f16 v142, v19, 0x3722, v95
	v_add_f16_e32 v121, v125, v121
	v_fmamk_f16 v125, v16, 0x35c8, v140
	v_add_f16_e32 v132, v138, v132
	v_fmamk_f16 v138, v30, 0x3722, v141
	v_mul_f16_sdwa v143, v22, v92 dst_sel:DWORD dst_unused:UNUSED_PAD src0_sel:WORD_1 src1_sel:DWORD
	v_mul_f16_sdwa v49, v33, v49 dst_sel:DWORD dst_unused:UNUSED_PAD src0_sel:WORD_1 src1_sel:DWORD
	v_add_f16_e32 v119, v142, v119
	v_add_f16_e32 v121, v125, v121
	;; [unrolled: 1-line block ×3, first 2 shown]
	v_fmamk_f16 v132, v29, 0xbbdd, v143
	v_mul_f16_sdwa v123, v18, v123 dst_sel:DWORD dst_unused:UNUSED_PAD src0_sel:WORD_1 src1_sel:DWORD
	v_fmamk_f16 v142, v26, 0x3bf7, v49
	v_mul_f16_sdwa v51, v32, v51 dst_sel:DWORD dst_unused:UNUSED_PAD src0_sel:WORD_1 src1_sel:DWORD
	v_mul_f16_sdwa v86, v16, v86 dst_sel:DWORD dst_unused:UNUSED_PAD src0_sel:WORD_1 src1_sel:DWORD
	v_add_f16_e32 v125, v132, v125
	v_fmamk_f16 v132, v28, 0x2de8, v123
	v_add_f16_sdwa v142, v4, v142 dst_sel:DWORD dst_unused:UNUSED_PAD src0_sel:WORD_1 src1_sel:DWORD
	v_fmamk_f16 v144, v25, 0x31e1, v51
	v_mul_f16_sdwa v52, v31, v52 dst_sel:DWORD dst_unused:UNUSED_PAD src0_sel:WORD_1 src1_sel:DWORD
	v_fmac_f16_e32 v49, 0xbbf7, v26
	v_mul_f16_sdwa v138, v19, v45 dst_sel:DWORD dst_unused:UNUSED_PAD src0_sel:WORD_1 src1_sel:DWORD
	v_add_f16_e32 v125, v132, v125
	v_fmamk_f16 v132, v27, 0x3b76, v86
	v_add_f16_e32 v142, v144, v142
	v_fmamk_f16 v144, v24, 0xbbb2, v52
	v_mul_f16_sdwa v48, v30, v48 dst_sel:DWORD dst_unused:UNUSED_PAD src0_sel:WORD_1 src1_sel:DWORD
	v_mul_f16_sdwa v87, v26, v87 dst_sel:DWORD dst_unused:UNUSED_PAD src0_sel:WORD_1 src1_sel:DWORD
	v_add_f16_sdwa v49, v4, v49 dst_sel:DWORD dst_unused:UNUSED_PAD src0_sel:WORD_1 src1_sel:DWORD
	v_fmac_f16_e32 v51, 0xb1e1, v25
	v_fmamk_f16 v145, v5, 0x3a62, v138
	v_add_f16_e32 v125, v132, v125
	v_add_f16_e32 v132, v144, v142
	v_fmamk_f16 v142, v23, 0xb5c8, v48
	v_mul_f16_sdwa v47, v29, v47 dst_sel:DWORD dst_unused:UNUSED_PAD src0_sel:WORD_1 src1_sel:DWORD
	v_fmamk_f16 v144, v33, 0x2de8, v87
	v_mul_f16_sdwa v92, v25, v92 dst_sel:DWORD dst_unused:UNUSED_PAD src0_sel:WORD_1 src1_sel:DWORD
	v_add_f16_e32 v49, v51, v49
	v_fmac_f16_e32 v52, 0x3bb2, v24
	v_add_f16_e32 v121, v145, v121
	v_add_f16_e32 v132, v142, v132
	v_fmamk_f16 v142, v22, 0x3b29, v47
	v_mul_f16_sdwa v46, v28, v46 dst_sel:DWORD dst_unused:UNUSED_PAD src0_sel:WORD_1 src1_sel:DWORD
	v_add_f16_e32 v144, v4, v144
	v_fmamk_f16 v145, v32, 0xbbdd, v92
	v_mul_f16_sdwa v84, v24, v84 dst_sel:DWORD dst_unused:UNUSED_PAD src0_sel:WORD_1 src1_sel:DWORD
	v_fma_f16 v87, v33, 0x2de8, -v87
	v_add_f16_e32 v49, v52, v49
	v_fmac_f16_e32 v48, 0x35c8, v23
	v_add_f16_e32 v132, v142, v132
	v_fmamk_f16 v142, v18, 0x3836, v46
	v_add_f16_e32 v144, v145, v144
	v_fmamk_f16 v145, v31, 0xb461, v84
	v_mul_f16_sdwa v98, v23, v98 dst_sel:DWORD dst_unused:UNUSED_PAD src0_sel:WORD_1 src1_sel:DWORD
	v_fmac_f16_e32 v99, 0xb836, v26
	v_add_f16_e32 v52, v4, v87
	v_fma_f16 v87, v32, 0xbbdd, -v92
	v_add_f16_e32 v48, v48, v49
	v_fmac_f16_e32 v47, 0xbb29, v22
	v_mul_f16_sdwa v45, v27, v45 dst_sel:DWORD dst_unused:UNUSED_PAD src0_sel:WORD_1 src1_sel:DWORD
	v_add_f16_e32 v132, v142, v132
	v_add_f16_e32 v142, v145, v144
	v_fmamk_f16 v144, v30, 0x3b76, v98
	v_mul_f16_sdwa v62, v22, v62 dst_sel:DWORD dst_unused:UNUSED_PAD src0_sel:WORD_1 src1_sel:DWORD
	v_add_f16_sdwa v99, v4, v99 dst_sel:DWORD dst_unused:UNUSED_PAD src0_sel:WORD_1 src1_sel:DWORD
	v_fmac_f16_e32 v102, 0x3b29, v25
	v_fma_f16 v90, v33, 0xbacd, -v90
	v_add_f16_e32 v49, v87, v52
	v_fma_f16 v52, v31, 0xb461, -v84
	v_add_f16_e32 v47, v47, v48
	v_fmac_f16_e32 v46, 0xb836, v18
	v_fmamk_f16 v145, v16, 0xba62, v45
	v_mul_f16_sdwa v44, v19, v44 dst_sel:DWORD dst_unused:UNUSED_PAD src0_sel:WORD_1 src1_sel:DWORD
	v_add_f16_e32 v142, v144, v142
	v_fmamk_f16 v144, v29, 0x3722, v62
	v_mul_f16_sdwa v91, v18, v91 dst_sel:DWORD dst_unused:UNUSED_PAD src0_sel:WORD_1 src1_sel:DWORD
	v_add_f16_e32 v99, v102, v99
	v_fmac_f16_e32 v105, 0xbbf7, v24
	v_add_f16_e32 v90, v4, v90
	v_fma_f16 v89, v32, 0x3722, -v89
	v_add_f16_e32 v48, v52, v49
	v_fma_f16 v49, v30, 0x3b76, -v98
	v_fmac_f16_e32 v43, 0xbb29, v26
	v_add_f16_e32 v46, v46, v47
	v_fmac_f16_e32 v45, 0x3a62, v16
	v_add_f16_e32 v132, v145, v132
	v_fmamk_f16 v145, v5, 0xb964, v44
	v_add_f16_e32 v142, v144, v142
	v_fmamk_f16 v144, v28, 0xbacd, v91
	v_mul_f16_sdwa v100, v16, v100 dst_sel:DWORD dst_unused:UNUSED_PAD src0_sel:WORD_1 src1_sel:DWORD
	v_add_f16_e32 v99, v105, v99
	v_fmac_f16_e32 v101, 0x3a62, v23
	v_add_f16_e32 v89, v89, v90
	v_fma_f16 v90, v31, 0x2de8, -v97
	v_add_f16_e32 v47, v49, v48
	v_fma_f16 v48, v29, 0x3722, -v62
	v_add_f16_sdwa v43, v4, v43 dst_sel:DWORD dst_unused:UNUSED_PAD src0_sel:WORD_1 src1_sel:DWORD
	v_fmac_f16_e32 v42, 0xba62, v25
	v_add_f16_e32 v45, v45, v46
	v_fmac_f16_e32 v44, 0x3964, v5
	v_add_f16_e32 v102, v145, v132
	v_add_f16_e32 v132, v144, v142
	v_fmamk_f16 v105, v27, 0xb8d2, v100
	v_mul_f16_sdwa v85, v5, v85 dst_sel:DWORD dst_unused:UNUSED_PAD src0_sel:WORD_1 src1_sel:DWORD
	v_add_f16_e32 v99, v101, v99
	v_fmac_f16_e32 v94, 0xb5c8, v22
	v_add_f16_e32 v89, v90, v89
	v_fma_f16 v90, v30, 0xb8d2, -v106
	v_fmac_f16_e32 v111, 0xba62, v26
	v_add_f16_e32 v46, v48, v47
	v_fma_f16 v47, v28, 0xbacd, -v91
	v_add_f16_e32 v42, v42, v43
	v_fmac_f16_e32 v41, 0x31e1, v24
	v_add_f16_e32 v43, v44, v45
	v_fma_f16 v44, v33, 0x3722, -v55
	v_add_f16_e32 v97, v105, v132
	v_fmamk_f16 v101, v19, 0x39e9, v85
	v_add_f16_e32 v94, v94, v99
	v_add_f16_e32 v89, v90, v89
	v_fma_f16 v90, v29, 0x3b76, -v108
	v_add_f16_sdwa v99, v4, v111 dst_sel:DWORD dst_unused:UNUSED_PAD src0_sel:WORD_1 src1_sel:DWORD
	v_fmac_f16_e32 v103, 0x3bb2, v25
	v_add_f16_e32 v45, v47, v46
	v_fma_f16 v46, v27, 0xb8d2, -v100
	v_add_f16_e32 v41, v41, v42
	v_fmac_f16_e32 v40, 0x3bb2, v23
	v_add_f16_e32 v42, v4, v44
	v_fma_f16 v44, v32, 0xb8d2, -v61
	v_add_f16_e32 v97, v101, v97
	v_add_f16_e32 v89, v90, v89
	v_fma_f16 v90, v28, 0xbbdd, -v110
	v_add_f16_e32 v99, v103, v99
	v_fmac_f16_e32 v116, 0xb5c8, v24
	v_fma_f16 v101, v33, 0xb8d2, -v112
	v_add_f16_e32 v45, v46, v45
	v_fma_f16 v46, v19, 0x39e9, -v85
	v_add_f16_e32 v40, v40, v41
	v_fmac_f16_e32 v39, 0x3964, v22
	v_add_f16_e32 v41, v44, v42
	v_fma_f16 v42, v31, 0xbbdd, -v63
	v_fmac_f16_e32 v66, 0xb964, v26
	v_add_f16_e32 v89, v90, v89
	v_fma_f16 v90, v27, 0x39e9, -v113
	v_add_f16_e32 v99, v116, v99
	v_fmac_f16_e32 v118, 0xb836, v23
	v_add_f16_e32 v101, v4, v101
	v_fma_f16 v103, v32, 0xb461, -v120
	v_add_f16_e32 v44, v46, v45
	v_add_f16_e32 v39, v39, v40
	;; [unrolled: 1-line block ×3, first 2 shown]
	v_fma_f16 v41, v30, 0xb461, -v60
	v_add_f16_sdwa v42, v4, v66 dst_sel:DWORD dst_unused:UNUSED_PAD src0_sel:WORD_1 src1_sel:DWORD
	v_fmac_f16_e32 v64, 0xbbf7, v25
	v_fma_f16 v45, v33, 0x39e9, -v74
	v_add_f16_e32 v89, v90, v89
	v_fma_f16 v90, v19, 0xb461, -v117
	v_add_f16_e32 v99, v118, v99
	v_fmac_f16_e32 v115, 0x3bf7, v22
	v_add_f16_e32 v101, v103, v101
	v_fma_f16 v103, v31, 0x3b76, -v124
	v_fmac_f16_e32 v129, 0xbbb2, v26
	v_add_f16_e32 v40, v41, v40
	v_add_f16_e32 v41, v64, v42
	v_fma_f16 v42, v29, 0x39e9, -v57
	v_add_f16_e32 v45, v4, v45
	v_fma_f16 v46, v32, 0x2de8, -v75
	v_add_f16_e32 v89, v90, v89
	v_add_f16_e32 v90, v115, v99
	;; [unrolled: 1-line block ×3, first 2 shown]
	v_fma_f16 v101, v30, 0xbacd, -v122
	v_add_f16_sdwa v103, v4, v129 dst_sel:DWORD dst_unused:UNUSED_PAD src0_sel:WORD_1 src1_sel:DWORD
	v_fmac_f16_e32 v131, 0x3836, v25
	v_add_f16_e32 v40, v42, v40
	v_add_f16_e32 v42, v46, v45
	v_fma_f16 v45, v31, 0xb8d2, -v77
	v_fma_f16 v46, v28, 0x3b76, -v59
	v_add_f16_e32 v99, v101, v99
	v_fma_f16 v101, v29, 0x2de8, -v127
	v_add_f16_e32 v103, v131, v103
	v_fmac_f16_e32 v134, 0x3964, v24
	v_add_f16_e32 v42, v45, v42
	v_fma_f16 v45, v30, 0xbbdd, -v78
	v_add_f16_e32 v40, v46, v40
	v_fma_f16 v46, v27, 0x2de8, -v58
	v_mul_f16_sdwa v71, v5, v71 dst_sel:DWORD dst_unused:UNUSED_PAD src0_sel:WORD_1 src1_sel:DWORD
	v_add_f16_e32 v99, v101, v99
	v_fma_f16 v88, v28, 0x39e9, -v88
	v_add_f16_e32 v101, v134, v103
	v_fmac_f16_e32 v136, 0xbb29, v23
	v_fma_f16 v103, v33, 0xb461, -v114
	v_fmac_f16_e32 v54, 0xb5c8, v18
	v_add_f16_e32 v42, v45, v42
	v_fma_f16 v45, v29, 0xbacd, -v80
	v_add_f16_e32 v40, v46, v40
	v_fma_f16 v46, v19, 0xbacd, -v73
	v_pk_mul_f16 v33, 0xbbdd, v33 op_sel_hi:[0,1]
	v_fmamk_f16 v146, v19, 0xb8d2, v71
	v_add_f16_e32 v88, v88, v99
	v_fma_f16 v99, v27, 0xbbdd, -v133
	v_add_f16_e32 v101, v136, v101
	v_fmac_f16_e32 v135, 0xb1e1, v22
	v_add_f16_e32 v103, v4, v103
	v_fma_f16 v93, v32, 0xbacd, -v93
	v_add_f16_e32 v39, v54, v39
	v_fmac_f16_e32 v50, 0xbbf7, v16
	v_add_f16_e32 v42, v45, v42
	v_fma_f16 v45, v28, 0xb461, -v81
	v_add_f16_e32 v40, v46, v40
	v_pk_fma_f16 v46, 0xb1e1, v26, v33 op_sel:[0,0,1] op_sel_hi:[0,1,0]
	v_pk_mul_f16 v32, 0x3b76, v32 op_sel_hi:[0,1]
	v_add_f16_e32 v125, v146, v125
	v_add_f16_e32 v88, v99, v88
	v_fma_f16 v95, v19, 0x3722, -v95
	v_add_f16_e32 v99, v135, v101
	v_fmac_f16_e32 v137, 0x3bf7, v18
	v_add_f16_e32 v93, v93, v103
	v_fma_f16 v101, v31, 0x39e9, -v139
	v_add_f16_e32 v39, v50, v39
	v_fmac_f16_e32 v53, 0xb836, v5
	v_add_f16_e32 v42, v45, v42
	v_fma_f16 v45, v27, 0x3722, -v76
	v_alignbit_b32 v47, s0, v46, 16
	v_pk_fma_f16 v48, 0x35c8, v25, v32 op_sel:[0,0,1] op_sel_hi:[0,1,0]
	v_pk_mul_f16 v31, 0xbacd, v31 op_sel_hi:[0,1]
	v_add_f16_e32 v88, v95, v88
	v_add_f16_e32 v95, v137, v99
	;; [unrolled: 1-line block ×3, first 2 shown]
	v_fma_f16 v99, v30, 0x3722, -v141
	v_add_f16_e32 v39, v53, v39
	v_add_f16_e32 v42, v45, v42
	v_pack_b32_f16 v45, v125, v121
	v_pack_b32_f16 v49, v97, v102
	v_pk_add_f16 v47, v4, v47
	v_alignbit_b32 v53, s0, v48, 16
	v_pk_fma_f16 v54, 0xb836, v24, v31 op_sel:[0,0,1] op_sel_hi:[0,1,0]
	v_pk_mul_f16 v30, 0x39e9, v30 op_sel_hi:[0,1]
	v_add_f16_e32 v93, v99, v93
	v_fma_f16 v99, v29, 0xbbdd, -v143
	ds_write2_b32 v56, v49, v45 offset0:4 offset1:5
	v_pk_add_f16 v45, v53, v47
	v_alignbit_b32 v47, s0, v54, 16
	v_pk_fma_f16 v49, 0x3964, v23, v30 op_sel:[0,0,1] op_sel_hi:[0,1,0]
	v_pk_mul_f16 v29, 0xb8d2, v29 op_sel_hi:[0,1]
	v_alignbit_b32 v57, s0, v4, 16
	v_pk_fma_f16 v26, 0xb1e1, v26, v33 op_sel:[0,0,1] op_sel_hi:[0,1,0] neg_lo:[0,1,0] neg_hi:[0,1,0]
	v_pk_add_f16 v45, v47, v45
	v_alignbit_b32 v47, s0, v49, 16
	v_pk_fma_f16 v55, 0xba62, v22, v29 op_sel:[0,0,1] op_sel_hi:[0,1,0]
	v_fmac_f16_e32 v140, 0xb5c8, v16
	v_pk_add_f16 v46, v57, v46
	v_pk_add_f16 v26, v4, v26 op_sel:[1,0] op_sel_hi:[0,1]
	v_pk_add_f16 v33, v47, v45
	v_alignbit_b32 v45, s0, v55, 16
	v_pk_fma_f16 v25, 0x35c8, v25, v32 op_sel:[0,0,1] op_sel_hi:[0,1,0] neg_lo:[0,1,0] neg_hi:[0,1,0]
	v_bfi_b32 v13, 0xffff, v14, v13
	v_add_f16_e32 v95, v140, v95
	v_fmac_f16_e32 v138, 0xba62, v5
	v_fmac_f16_e32 v65, 0xba62, v24
	v_pk_add_f16 v32, v45, v33
	v_pk_add_f16 v45, v48, v46
	;; [unrolled: 1-line block ×3, first 2 shown]
	v_pk_fma_f16 v24, 0xb836, v24, v31 op_sel:[0,0,1] op_sel_hi:[0,1,0] neg_lo:[0,1,0] neg_hi:[0,1,0]
	v_pk_add_f16 v4, v4, v13
	v_bfi_b32 v10, 0xffff, v12, v10
	v_add_f16_e32 v51, v138, v95
	v_fma_f16 v95, v28, 0x2de8, -v123
	v_fmac_f16_e32 v67, 0xb1e1, v23
	v_pk_mul_f16 v28, 0x3722, v28 op_sel_hi:[0,1]
	v_pk_add_f16 v14, v54, v45
	v_pk_add_f16 v24, v24, v25
	v_pk_fma_f16 v23, 0x3964, v23, v30 op_sel:[0,0,1] op_sel_hi:[0,1,0] neg_lo:[0,1,0] neg_hi:[0,1,0]
	v_add_f16_e32 v41, v65, v41
	v_pk_add_f16 v4, v10, v4
	v_bfi_b32 v8, 0xffff, v11, v8
	v_fma_f16 v86, v27, 0x3b76, -v86
	v_pk_fma_f16 v47, 0x3b29, v18, v28 op_sel:[0,0,1] op_sel_hi:[0,1,0]
	v_pk_mul_f16 v27, 0xb461, v27 op_sel_hi:[0,1]
	v_pk_add_f16 v12, v49, v14
	v_pk_add_f16 v13, v23, v24
	v_pk_fma_f16 v14, 0xba62, v22, v29 op_sel:[0,0,1] op_sel_hi:[0,1,0] neg_lo:[0,1,0] neg_hi:[0,1,0]
	v_add_f16_e32 v41, v67, v41
	v_fmac_f16_e32 v68, 0x3836, v22
	v_pk_add_f16 v4, v8, v4
	v_bfi_b32 v6, 0xffff, v6, v9
	v_alignbit_b32 v33, s0, v47, 16
	v_pk_fma_f16 v31, 0xbbb2, v16, v27 op_sel:[0,0,1] op_sel_hi:[0,1,0]
	v_pk_add_f16 v10, v55, v12
	v_pk_add_f16 v11, v14, v13
	v_pk_fma_f16 v12, 0x3b29, v18, v28 op_sel:[0,0,1] op_sel_hi:[0,1,0] neg_lo:[0,1,0] neg_hi:[0,1,0]
	v_pk_mul_f16 v13, 0x2de8, v19 op_sel_hi:[0,1]
	v_fmac_f16_e32 v104, 0xb1e1, v18
	v_fmac_f16_e32 v126, 0xb964, v18
	v_add_f16_e32 v93, v99, v93
	v_add_f16_e32 v41, v68, v41
	v_fmac_f16_e32 v69, 0x3bb2, v18
	v_pk_add_f16 v4, v6, v4
	v_bfi_b32 v6, 0xffff, v15, v7
	v_pk_add_f16 v26, v33, v32
	v_alignbit_b32 v25, s0, v31, 16
	v_pk_add_f16 v8, v47, v10
	v_pk_add_f16 v9, v12, v11
	v_pk_fma_f16 v10, 0xbbb2, v16, v27 op_sel:[0,0,1] op_sel_hi:[0,1,0] neg_lo:[0,1,0] neg_hi:[0,1,0]
	v_pk_fma_f16 v11, 0x3bf7, v5, v13 op_sel:[0,0,1] op_sel_hi:[0,1,0]
	v_add_f16_e32 v94, v104, v94
	v_fmac_f16_e32 v107, 0x3964, v16
	v_add_f16_e32 v90, v126, v90
	v_fmac_f16_e32 v128, 0xb1e1, v16
	v_add_f16_e32 v92, v95, v93
	v_add_f16_e32 v41, v69, v41
	v_fmac_f16_e32 v70, 0x3b29, v16
	v_pk_add_f16 v4, v6, v4
	v_bfi_b32 v6, 0xffff, v34, v17
	v_fmac_f16_e32 v109, 0xbbb2, v5
	v_fmac_f16_e32 v130, 0x3b29, v5
	;; [unrolled: 1-line block ×3, first 2 shown]
	v_pk_add_f16 v22, v25, v26
	v_pk_add_f16 v7, v31, v8
	;; [unrolled: 1-line block ×3, first 2 shown]
	v_pk_fma_f16 v5, 0x3bf7, v5, v13 op_sel:[0,0,1] op_sel_hi:[0,1,0] neg_lo:[0,1,0] neg_hi:[0,1,0]
	v_alignbit_b32 v9, s0, v11, 16
	v_add_f16_e32 v94, v107, v94
	v_add_f16_e32 v90, v128, v90
	;; [unrolled: 1-line block ×3, first 2 shown]
	v_fma_f16 v71, v19, 0xb8d2, -v71
	v_add_f16_e32 v41, v70, v41
	v_fma_f16 v50, v19, 0x3b76, -v72
	v_pk_add_f16 v4, v6, v4
	v_bfi_b32 v6, 0xffff, v36, v35
	v_pk_add_f16 v7, v11, v7
	v_pk_add_f16 v5, v5, v8
	;; [unrolled: 1-line block ×3, first 2 shown]
	v_add_f16_e32 v94, v109, v94
	v_add_f16_e32 v90, v130, v90
	;; [unrolled: 1-line block ×5, first 2 shown]
	v_pk_add_f16 v4, v6, v4
	v_bfi_b32 v6, 0xffff, v38, v37
	v_pack_b32_f16 v50, v83, v82
	v_pack_b32_f16 v53, v119, v96
	v_alignbit_b32 v7, v7, v5, 16
	v_pack_b32_f16 v5, v8, v5
	v_pack_b32_f16 v8, v88, v90
	;; [unrolled: 1-line block ×7, first 2 shown]
	v_pk_add_f16 v4, v6, v4
	ds_write2_b32 v56, v53, v50 offset0:6 offset1:7
	ds_write2_b32 v56, v5, v7 offset0:8 offset1:9
	;; [unrolled: 1-line block ×5, first 2 shown]
	ds_write_b32 v56, v4 offset:64
.LBB0_19:
	s_or_b32 exec_lo, exec_lo, s1
	v_and_b32_e32 v4, 0xff, v0
	v_mov_b32_e32 v5, 9
	s_waitcnt lgkmcnt(0)
	s_barrier
	buffer_gl0_inv
	v_mul_lo_u16 v4, 0xf1, v4
	v_mov_b32_e32 v30, 0x2a8
	v_mov_b32_e32 v31, 2
	v_mul_u32_u24_e32 v29, 9, v0
	v_lshrrev_b16 v26, 12, v4
	v_lshlrev_b32_e32 v29, 2, v29
	v_mul_lo_u16 v4, v26, 17
	v_mul_u32_u24_sdwa v26, v26, v30 dst_sel:DWORD dst_unused:UNUSED_PAD src0_sel:WORD_0 src1_sel:DWORD
	v_sub_nc_u16 v27, v0, v4
	v_mul_u32_u24_sdwa v4, v27, v5 dst_sel:DWORD dst_unused:UNUSED_PAD src0_sel:BYTE_0 src1_sel:DWORD
	v_add_nc_u32_e32 v5, 0xa00, v20
	v_lshlrev_b32_sdwa v27, v31, v27 dst_sel:DWORD dst_unused:UNUSED_PAD src0_sel:DWORD src1_sel:BYTE_0
	v_lshlrev_b32_e32 v4, 2, v4
	s_clause 0x2
	global_load_dwordx4 v[6:9], v4, s[8:9]
	global_load_dwordx4 v[10:13], v4, s[8:9] offset:16
	global_load_dword v28, v4, s[8:9] offset:32
	v_add_nc_u32_e32 v4, 0xf00, v20
	ds_read2_b32 v[14:15], v20 offset1:170
	ds_read2_b32 v[16:17], v21 offset0:80 offset1:250
	ds_read2_b32 v[18:19], v1 offset0:84 offset1:254
	v_add3_u32 v26, 0, v26, v27
	ds_read2_b32 v[22:23], v4 offset0:60 offset1:230
	ds_read2_b32 v[24:25], v5 offset0:40 offset1:210
	s_waitcnt vmcnt(0) lgkmcnt(0)
	s_barrier
	buffer_gl0_inv
	v_lshrrev_b32_e32 v34, 16, v15
	v_lshrrev_b32_e32 v32, 16, v16
	;; [unrolled: 1-line block ×10, first 2 shown]
	v_mul_f16_sdwa v27, v6, v34 dst_sel:DWORD dst_unused:UNUSED_PAD src0_sel:WORD_1 src1_sel:DWORD
	v_mul_f16_sdwa v40, v6, v15 dst_sel:DWORD dst_unused:UNUSED_PAD src0_sel:WORD_1 src1_sel:DWORD
	;; [unrolled: 1-line block ×10, first 2 shown]
	v_mul_f16_sdwa v49, v31, v11 dst_sel:DWORD dst_unused:UNUSED_PAD src0_sel:DWORD src1_sel:WORD_1
	v_mul_f16_sdwa v50, v22, v11 dst_sel:DWORD dst_unused:UNUSED_PAD src0_sel:DWORD src1_sel:WORD_1
	;; [unrolled: 1-line block ×8, first 2 shown]
	v_fmac_f16_e32 v27, v6, v15
	v_fma_f16 v6, v6, v34, -v40
	v_fmac_f16_e32 v41, v7, v18
	v_fma_f16 v7, v7, v35, -v42
	;; [unrolled: 2-line block ×8, first 2 shown]
	v_fma_f16 v15, v33, v28, -v56
	v_fmac_f16_e32 v55, v17, v28
	v_sub_f16_e32 v22, v41, v45
	v_sub_f16_e32 v23, v53, v49
	;; [unrolled: 1-line block ×6, first 2 shown]
	v_add_f16_e32 v54, v6, v8
	v_add_f16_e32 v56, v10, v12
	;; [unrolled: 1-line block ×6, first 2 shown]
	v_sub_f16_e32 v33, v41, v53
	v_add_f16_e32 v39, v27, v43
	v_add_f16_e32 v40, v47, v51
	v_sub_f16_e32 v41, v8, v15
	v_sub_f16_e32 v42, v10, v12
	;; [unrolled: 1-line block ×3, first 2 shown]
	v_add_f16_e32 v48, v43, v55
	v_sub_f16_e32 v50, v47, v43
	v_sub_f16_e32 v43, v43, v55
	;; [unrolled: 1-line block ×4, first 2 shown]
	v_add_f16_e32 v22, v22, v23
	v_add_f16_e32 v23, v25, v28
	;; [unrolled: 1-line block ×4, first 2 shown]
	v_fma_f16 v36, -0.5, v56, v6
	v_add_f16_e32 v17, v45, v49
	v_add_f16_e32 v32, v9, v11
	;; [unrolled: 1-line block ×3, first 2 shown]
	v_sub_f16_e32 v46, v55, v51
	v_sub_f16_e32 v57, v47, v51
	v_fmac_f16_e32 v6, -0.5, v60
	v_sub_f16_e32 v18, v7, v13
	v_sub_f16_e32 v19, v9, v11
	;; [unrolled: 1-line block ×5, first 2 shown]
	v_add_f16_e32 v9, v31, v9
	v_fma_f16 v31, -0.5, v40, v27
	v_add_f16_e32 v10, v10, v12
	v_fmamk_f16 v12, v43, 0x3b9c, v36
	v_sub_f16_e32 v34, v45, v49
	v_add_f16_e32 v16, v16, v45
	v_fma_f16 v17, -0.5, v17, v14
	v_fmac_f16_e32 v14, -0.5, v24
	v_fma_f16 v24, -0.5, v32, v30
	v_fmac_f16_e32 v30, -0.5, v37
	v_add_f16_e32 v28, v39, v47
	v_add_f16_e32 v32, v44, v46
	v_fmac_f16_e32 v27, -0.5, v48
	v_fmamk_f16 v46, v57, 0xbb9c, v6
	v_fmac_f16_e32 v6, 0x3b9c, v57
	v_sub_f16_e32 v38, v11, v13
	v_fmac_f16_e32 v36, 0xbb9c, v43
	v_add_f16_e32 v37, v58, v59
	v_add_f16_e32 v9, v9, v11
	v_fmamk_f16 v44, v41, 0xbb9c, v31
	v_fmac_f16_e32 v12, 0x38b4, v57
	v_sub_f16_e32 v52, v51, v55
	v_add_f16_e32 v8, v8, v61
	v_add_f16_e32 v16, v16, v49
	v_fmamk_f16 v40, v34, 0xbb9c, v30
	v_fmac_f16_e32 v30, 0x3b9c, v34
	v_add_f16_e32 v28, v28, v51
	v_fmamk_f16 v45, v42, 0x3b9c, v27
	v_fmac_f16_e32 v27, 0xbb9c, v42
	v_fmac_f16_e32 v46, 0x38b4, v43
	;; [unrolled: 1-line block ×3, first 2 shown]
	v_add_f16_e32 v7, v7, v38
	v_fmamk_f16 v38, v18, 0xbb9c, v17
	v_fmac_f16_e32 v17, 0x3b9c, v18
	v_fmac_f16_e32 v31, 0x3b9c, v41
	;; [unrolled: 1-line block ×3, first 2 shown]
	v_fmamk_f16 v11, v33, 0x3b9c, v24
	v_add_f16_e32 v9, v9, v13
	v_fmac_f16_e32 v44, 0xb8b4, v42
	v_add_f16_e32 v10, v10, v15
	v_fmac_f16_e32 v12, 0x34f2, v37
	v_add_f16_e32 v35, v50, v52
	v_fmamk_f16 v39, v19, 0x3b9c, v14
	v_fmac_f16_e32 v14, 0xbb9c, v19
	v_add_f16_e32 v16, v16, v53
	v_fmac_f16_e32 v40, 0x38b4, v33
	v_fmac_f16_e32 v30, 0xb8b4, v33
	v_add_f16_e32 v13, v28, v55
	v_fmac_f16_e32 v45, 0xb8b4, v41
	v_fmac_f16_e32 v27, 0x38b4, v41
	;; [unrolled: 1-line block ×11, first 2 shown]
	v_add_f16_e32 v8, v9, v10
	v_sub_f16_e32 v9, v9, v10
	v_mul_f16_e32 v10, 0xb8b4, v12
	v_mul_f16_e32 v12, 0x3a79, v12
	v_fmac_f16_e32 v39, 0xb8b4, v18
	v_fmac_f16_e32 v14, 0x38b4, v18
	;; [unrolled: 1-line block ×6, first 2 shown]
	v_add_f16_e32 v7, v16, v13
	v_sub_f16_e32 v13, v16, v13
	v_mul_f16_e32 v15, 0xbb9c, v46
	v_mul_f16_e32 v16, 0xbb9c, v6
	;; [unrolled: 1-line block ×4, first 2 shown]
	v_fmac_f16_e32 v24, 0xb8b4, v34
	v_fmac_f16_e32 v38, 0x34f2, v22
	v_fmac_f16_e32 v17, 0x34f2, v22
	v_fmac_f16_e32 v31, 0x34f2, v32
	v_mul_f16_e32 v18, 0xb8b4, v36
	v_mul_f16_e32 v22, 0xba79, v36
	v_fmac_f16_e32 v11, 0x34f2, v25
	v_fmac_f16_e32 v10, 0x3a79, v44
	;; [unrolled: 1-line block ×12, first 2 shown]
	v_pack_b32_f16 v7, v7, v8
	v_pack_b32_f16 v8, v13, v9
	v_add_f16_e32 v9, v38, v10
	v_add_f16_e32 v27, v11, v12
	;; [unrolled: 1-line block ×8, first 2 shown]
	v_sub_f16_e32 v10, v38, v10
	v_sub_f16_e32 v15, v39, v15
	;; [unrolled: 1-line block ×8, first 2 shown]
	v_pack_b32_f16 v9, v9, v27
	v_pack_b32_f16 v13, v13, v28
	;; [unrolled: 1-line block ×8, first 2 shown]
	ds_write2_b32 v26, v7, v9 offset1:17
	ds_write2_b32 v26, v13, v18 offset0:34 offset1:51
	ds_write2_b32 v26, v19, v8 offset0:68 offset1:85
	;; [unrolled: 1-line block ×4, first 2 shown]
	s_waitcnt lgkmcnt(0)
	s_barrier
	buffer_gl0_inv
	s_clause 0x2
	global_load_dwordx4 v[6:9], v29, s[8:9] offset:612
	global_load_dwordx4 v[10:13], v29, s[8:9] offset:628
	global_load_dword v26, v29, s[8:9] offset:644
	ds_read2_b32 v[14:15], v20 offset1:170
	ds_read2_b32 v[16:17], v4 offset0:60 offset1:230
	ds_read2_b32 v[18:19], v21 offset0:80 offset1:250
	;; [unrolled: 1-line block ×4, first 2 shown]
	s_waitcnt vmcnt(0) lgkmcnt(0)
	s_barrier
	buffer_gl0_inv
	v_lshrrev_b32_e32 v32, 16, v15
	v_lshrrev_b32_e32 v28, 16, v16
	;; [unrolled: 1-line block ×10, first 2 shown]
	v_mul_f16_sdwa v37, v6, v32 dst_sel:DWORD dst_unused:UNUSED_PAD src0_sel:WORD_1 src1_sel:DWORD
	v_mul_f16_sdwa v38, v6, v15 dst_sel:DWORD dst_unused:UNUSED_PAD src0_sel:WORD_1 src1_sel:DWORD
	;; [unrolled: 1-line block ×10, first 2 shown]
	v_mul_f16_sdwa v47, v28, v11 dst_sel:DWORD dst_unused:UNUSED_PAD src0_sel:DWORD src1_sel:WORD_1
	v_mul_f16_sdwa v48, v16, v11 dst_sel:DWORD dst_unused:UNUSED_PAD src0_sel:DWORD src1_sel:WORD_1
	;; [unrolled: 1-line block ×8, first 2 shown]
	v_fmac_f16_e32 v37, v6, v15
	v_fma_f16 v6, v6, v32, -v38
	v_fmac_f16_e32 v39, v7, v22
	v_fma_f16 v7, v7, v33, -v40
	;; [unrolled: 2-line block ×8, first 2 shown]
	v_fma_f16 v15, v31, v26, -v54
	v_fmac_f16_e32 v53, v19, v26
	v_sub_f16_e32 v22, v39, v43
	v_sub_f16_e32 v23, v51, v47
	;; [unrolled: 1-line block ×6, first 2 shown]
	v_add_f16_e32 v52, v6, v8
	v_add_f16_e32 v54, v10, v12
	;; [unrolled: 1-line block ×6, first 2 shown]
	v_sub_f16_e32 v30, v39, v51
	v_add_f16_e32 v36, v37, v41
	v_add_f16_e32 v38, v45, v49
	v_sub_f16_e32 v39, v8, v15
	v_sub_f16_e32 v40, v10, v12
	;; [unrolled: 1-line block ×3, first 2 shown]
	v_add_f16_e32 v46, v41, v53
	v_sub_f16_e32 v48, v45, v41
	v_sub_f16_e32 v41, v41, v53
	;; [unrolled: 1-line block ×4, first 2 shown]
	v_add_f16_e32 v22, v22, v23
	v_add_f16_e32 v23, v25, v26
	;; [unrolled: 1-line block ×4, first 2 shown]
	v_fma_f16 v33, -0.5, v54, v6
	v_add_f16_e32 v17, v43, v47
	v_add_f16_e32 v29, v9, v11
	;; [unrolled: 1-line block ×3, first 2 shown]
	v_sub_f16_e32 v44, v53, v49
	v_sub_f16_e32 v55, v45, v49
	v_fmac_f16_e32 v6, -0.5, v58
	v_sub_f16_e32 v18, v7, v13
	v_sub_f16_e32 v19, v9, v11
	;; [unrolled: 1-line block ×5, first 2 shown]
	v_add_f16_e32 v9, v28, v9
	v_fma_f16 v28, -0.5, v38, v37
	v_add_f16_e32 v10, v10, v12
	v_fmamk_f16 v12, v41, 0x3b9c, v33
	v_sub_f16_e32 v31, v43, v47
	v_add_f16_e32 v16, v16, v43
	v_fma_f16 v17, -0.5, v17, v14
	v_fmac_f16_e32 v14, -0.5, v24
	v_fma_f16 v24, -0.5, v29, v27
	v_fmac_f16_e32 v27, -0.5, v34
	v_add_f16_e32 v26, v36, v45
	v_add_f16_e32 v29, v42, v44
	v_fmac_f16_e32 v37, -0.5, v46
	v_fmamk_f16 v44, v55, 0xbb9c, v6
	v_fmac_f16_e32 v6, 0x3b9c, v55
	v_sub_f16_e32 v35, v11, v13
	v_fmac_f16_e32 v33, 0xbb9c, v41
	v_add_f16_e32 v34, v56, v57
	v_add_f16_e32 v9, v9, v11
	v_fmamk_f16 v42, v39, 0xbb9c, v28
	v_fmac_f16_e32 v12, 0x38b4, v55
	v_sub_f16_e32 v50, v49, v53
	v_add_f16_e32 v8, v8, v59
	v_add_f16_e32 v16, v16, v47
	v_fmamk_f16 v38, v31, 0xbb9c, v27
	v_fmac_f16_e32 v27, 0x3b9c, v31
	v_add_f16_e32 v26, v26, v49
	v_fmamk_f16 v43, v40, 0x3b9c, v37
	v_fmac_f16_e32 v37, 0xbb9c, v40
	v_fmac_f16_e32 v44, 0x38b4, v41
	;; [unrolled: 1-line block ×3, first 2 shown]
	v_add_f16_e32 v7, v7, v35
	v_fmamk_f16 v35, v18, 0xbb9c, v17
	v_fmac_f16_e32 v17, 0x3b9c, v18
	v_fmac_f16_e32 v28, 0x3b9c, v39
	;; [unrolled: 1-line block ×3, first 2 shown]
	v_fmamk_f16 v11, v30, 0x3b9c, v24
	v_add_f16_e32 v9, v9, v13
	v_fmac_f16_e32 v42, 0xb8b4, v40
	v_add_f16_e32 v10, v10, v15
	v_fmac_f16_e32 v12, 0x34f2, v34
	v_add_f16_e32 v32, v48, v50
	v_fmamk_f16 v36, v19, 0x3b9c, v14
	v_fmac_f16_e32 v14, 0xbb9c, v19
	v_add_f16_e32 v16, v16, v51
	v_fmac_f16_e32 v38, 0x38b4, v30
	v_fmac_f16_e32 v27, 0xb8b4, v30
	v_add_f16_e32 v13, v26, v53
	v_fmac_f16_e32 v43, 0xb8b4, v39
	v_fmac_f16_e32 v37, 0x38b4, v39
	;; [unrolled: 1-line block ×11, first 2 shown]
	v_add_f16_e32 v8, v9, v10
	v_sub_f16_e32 v9, v9, v10
	v_mul_f16_e32 v10, 0xb8b4, v12
	v_mul_f16_e32 v12, 0x3a79, v12
	v_fmac_f16_e32 v36, 0xb8b4, v18
	v_fmac_f16_e32 v14, 0x38b4, v18
	v_fmac_f16_e32 v38, 0x34f2, v7
	v_fmac_f16_e32 v27, 0x34f2, v7
	v_fmac_f16_e32 v43, 0x34f2, v32
	v_fmac_f16_e32 v37, 0x34f2, v32
	v_add_f16_e32 v7, v16, v13
	v_sub_f16_e32 v13, v16, v13
	v_mul_f16_e32 v15, 0xbb9c, v44
	v_mul_f16_e32 v16, 0xbb9c, v6
	;; [unrolled: 1-line block ×4, first 2 shown]
	v_fmac_f16_e32 v24, 0xb8b4, v31
	v_fmac_f16_e32 v35, 0x34f2, v22
	;; [unrolled: 1-line block ×4, first 2 shown]
	v_mul_f16_e32 v18, 0xb8b4, v33
	v_mul_f16_e32 v22, 0xba79, v33
	v_fmac_f16_e32 v11, 0x34f2, v25
	v_fmac_f16_e32 v10, 0x3a79, v42
	;; [unrolled: 1-line block ×12, first 2 shown]
	v_pack_b32_f16 v7, v7, v8
	v_pack_b32_f16 v8, v13, v9
	v_add_f16_e32 v9, v35, v10
	v_add_f16_e32 v26, v11, v12
	;; [unrolled: 1-line block ×8, first 2 shown]
	v_sub_f16_e32 v10, v35, v10
	v_sub_f16_e32 v15, v36, v15
	;; [unrolled: 1-line block ×8, first 2 shown]
	v_pack_b32_f16 v9, v9, v26
	v_pack_b32_f16 v13, v13, v28
	;; [unrolled: 1-line block ×8, first 2 shown]
	ds_write2_b32 v20, v7, v9 offset1:170
	ds_write2_b32 v1, v13, v18 offset0:84 offset1:254
	ds_write2_b32 v5, v19, v8 offset0:40 offset1:210
	;; [unrolled: 1-line block ×4, first 2 shown]
	s_waitcnt lgkmcnt(0)
	s_barrier
	buffer_gl0_inv
	s_and_saveexec_b32 s0, vcc_lo
	s_cbranch_execz .LBB0_21
; %bb.20:
	v_lshl_add_u32 v18, v0, 2, 0
	v_mov_b32_e32 v1, 0
	v_add_co_u32 v19, vcc_lo, s2, v2
	v_add_co_ci_u32_e32 v20, vcc_lo, s3, v3, vcc_lo
	ds_read2_b32 v[4:5], v18 offset1:170
	v_lshlrev_b64 v[10:11], 2, v[0:1]
	v_add_nc_u32_e32 v2, 0xaa, v0
	v_mov_b32_e32 v3, v1
	v_add_nc_u32_e32 v12, 0x400, v18
	v_add_nc_u32_e32 v13, 0xa00, v18
	;; [unrolled: 1-line block ×3, first 2 shown]
	v_add_co_u32 v10, vcc_lo, v19, v10
	v_add_co_ci_u32_e32 v11, vcc_lo, v20, v11, vcc_lo
	v_mov_b32_e32 v7, v1
	v_lshlrev_b64 v[2:3], 2, v[2:3]
	v_add_nc_u32_e32 v8, 0x1fe, v0
	v_mov_b32_e32 v9, v1
	ds_read2_b32 v[14:15], v13 offset0:40 offset1:210
	v_lshlrev_b64 v[6:7], 2, v[6:7]
	v_mov_b32_e32 v13, v1
	v_add_co_u32 v2, vcc_lo, v19, v2
	s_waitcnt lgkmcnt(1)
	global_store_dword v[10:11], v4, off
	ds_read2_b32 v[10:11], v12 offset0:84 offset1:254
	v_add_nc_u32_e32 v12, 0x2a8, v0
	v_lshlrev_b64 v[8:9], 2, v[8:9]
	v_add_co_ci_u32_e32 v3, vcc_lo, v20, v3, vcc_lo
	v_add_co_u32 v6, vcc_lo, v19, v6
	v_lshlrev_b64 v[12:13], 2, v[12:13]
	v_add_co_ci_u32_e32 v7, vcc_lo, v20, v7, vcc_lo
	v_add_co_u32 v8, vcc_lo, v19, v8
	v_add_co_ci_u32_e32 v9, vcc_lo, v20, v9, vcc_lo
	v_add_co_u32 v12, vcc_lo, v19, v12
	v_add_co_ci_u32_e32 v13, vcc_lo, v20, v13, vcc_lo
	v_add_nc_u32_e32 v16, 0x352, v0
	v_mov_b32_e32 v17, v1
	global_store_dword v[2:3], v5, off
	s_waitcnt lgkmcnt(0)
	global_store_dword v[6:7], v10, off
	global_store_dword v[8:9], v11, off
	;; [unrolled: 1-line block ×3, first 2 shown]
	v_add_nc_u32_e32 v8, 0xf00, v18
	v_add_nc_u32_e32 v4, 0x3fc, v0
	v_mov_b32_e32 v5, v1
	v_add_nc_u32_e32 v12, 0x1400, v18
	v_lshlrev_b64 v[2:3], 2, v[16:17]
	v_add_nc_u32_e32 v6, 0x4a6, v0
	v_mov_b32_e32 v7, v1
	ds_read2_b32 v[8:9], v8 offset0:60 offset1:230
	v_lshlrev_b64 v[4:5], 2, v[4:5]
	v_add_nc_u32_e32 v10, 0x550, v0
	v_mov_b32_e32 v11, v1
	ds_read2_b32 v[12:13], v12 offset0:80 offset1:250
	v_add_co_u32 v2, vcc_lo, v19, v2
	v_lshlrev_b64 v[6:7], 2, v[6:7]
	v_add_nc_u32_e32 v0, 0x5fa, v0
	v_add_co_ci_u32_e32 v3, vcc_lo, v20, v3, vcc_lo
	v_add_co_u32 v4, vcc_lo, v19, v4
	v_lshlrev_b64 v[10:11], 2, v[10:11]
	v_add_co_ci_u32_e32 v5, vcc_lo, v20, v5, vcc_lo
	v_add_co_u32 v6, vcc_lo, v19, v6
	v_lshlrev_b64 v[0:1], 2, v[0:1]
	v_add_co_ci_u32_e32 v7, vcc_lo, v20, v7, vcc_lo
	v_add_co_u32 v10, vcc_lo, v19, v10
	v_add_co_ci_u32_e32 v11, vcc_lo, v20, v11, vcc_lo
	v_add_co_u32 v0, vcc_lo, v19, v0
	v_add_co_ci_u32_e32 v1, vcc_lo, v20, v1, vcc_lo
	global_store_dword v[2:3], v15, off
	s_waitcnt lgkmcnt(1)
	global_store_dword v[4:5], v8, off
	global_store_dword v[6:7], v9, off
	s_waitcnt lgkmcnt(0)
	global_store_dword v[10:11], v12, off
	global_store_dword v[0:1], v13, off
.LBB0_21:
	s_endpgm
	.section	.rodata,"a",@progbits
	.p2align	6, 0x0
	.amdhsa_kernel fft_rtc_back_len1700_factors_17_10_10_wgs_170_tpt_170_halfLds_half_ip_CI_unitstride_sbrr_C2R_dirReg
		.amdhsa_group_segment_fixed_size 0
		.amdhsa_private_segment_fixed_size 0
		.amdhsa_kernarg_size 88
		.amdhsa_user_sgpr_count 6
		.amdhsa_user_sgpr_private_segment_buffer 1
		.amdhsa_user_sgpr_dispatch_ptr 0
		.amdhsa_user_sgpr_queue_ptr 0
		.amdhsa_user_sgpr_kernarg_segment_ptr 1
		.amdhsa_user_sgpr_dispatch_id 0
		.amdhsa_user_sgpr_flat_scratch_init 0
		.amdhsa_user_sgpr_private_segment_size 0
		.amdhsa_wavefront_size32 1
		.amdhsa_uses_dynamic_stack 0
		.amdhsa_system_sgpr_private_segment_wavefront_offset 0
		.amdhsa_system_sgpr_workgroup_id_x 1
		.amdhsa_system_sgpr_workgroup_id_y 0
		.amdhsa_system_sgpr_workgroup_id_z 0
		.amdhsa_system_sgpr_workgroup_info 0
		.amdhsa_system_vgpr_workitem_id 0
		.amdhsa_next_free_vgpr 147
		.amdhsa_next_free_sgpr 21
		.amdhsa_reserve_vcc 1
		.amdhsa_reserve_flat_scratch 0
		.amdhsa_float_round_mode_32 0
		.amdhsa_float_round_mode_16_64 0
		.amdhsa_float_denorm_mode_32 3
		.amdhsa_float_denorm_mode_16_64 3
		.amdhsa_dx10_clamp 1
		.amdhsa_ieee_mode 1
		.amdhsa_fp16_overflow 0
		.amdhsa_workgroup_processor_mode 1
		.amdhsa_memory_ordered 1
		.amdhsa_forward_progress 0
		.amdhsa_shared_vgpr_count 0
		.amdhsa_exception_fp_ieee_invalid_op 0
		.amdhsa_exception_fp_denorm_src 0
		.amdhsa_exception_fp_ieee_div_zero 0
		.amdhsa_exception_fp_ieee_overflow 0
		.amdhsa_exception_fp_ieee_underflow 0
		.amdhsa_exception_fp_ieee_inexact 0
		.amdhsa_exception_int_div_zero 0
	.end_amdhsa_kernel
	.text
.Lfunc_end0:
	.size	fft_rtc_back_len1700_factors_17_10_10_wgs_170_tpt_170_halfLds_half_ip_CI_unitstride_sbrr_C2R_dirReg, .Lfunc_end0-fft_rtc_back_len1700_factors_17_10_10_wgs_170_tpt_170_halfLds_half_ip_CI_unitstride_sbrr_C2R_dirReg
                                        ; -- End function
	.section	.AMDGPU.csdata,"",@progbits
; Kernel info:
; codeLenInByte = 11128
; NumSgprs: 23
; NumVgprs: 147
; ScratchSize: 0
; MemoryBound: 0
; FloatMode: 240
; IeeeMode: 1
; LDSByteSize: 0 bytes/workgroup (compile time only)
; SGPRBlocks: 2
; VGPRBlocks: 18
; NumSGPRsForWavesPerEU: 23
; NumVGPRsForWavesPerEU: 147
; Occupancy: 6
; WaveLimiterHint : 1
; COMPUTE_PGM_RSRC2:SCRATCH_EN: 0
; COMPUTE_PGM_RSRC2:USER_SGPR: 6
; COMPUTE_PGM_RSRC2:TRAP_HANDLER: 0
; COMPUTE_PGM_RSRC2:TGID_X_EN: 1
; COMPUTE_PGM_RSRC2:TGID_Y_EN: 0
; COMPUTE_PGM_RSRC2:TGID_Z_EN: 0
; COMPUTE_PGM_RSRC2:TIDIG_COMP_CNT: 0
	.text
	.p2alignl 6, 3214868480
	.fill 48, 4, 3214868480
	.type	__hip_cuid_969ccf6e12e780e9,@object ; @__hip_cuid_969ccf6e12e780e9
	.section	.bss,"aw",@nobits
	.globl	__hip_cuid_969ccf6e12e780e9
__hip_cuid_969ccf6e12e780e9:
	.byte	0                               ; 0x0
	.size	__hip_cuid_969ccf6e12e780e9, 1

	.ident	"AMD clang version 19.0.0git (https://github.com/RadeonOpenCompute/llvm-project roc-6.4.0 25133 c7fe45cf4b819c5991fe208aaa96edf142730f1d)"
	.section	".note.GNU-stack","",@progbits
	.addrsig
	.addrsig_sym __hip_cuid_969ccf6e12e780e9
	.amdgpu_metadata
---
amdhsa.kernels:
  - .args:
      - .actual_access:  read_only
        .address_space:  global
        .offset:         0
        .size:           8
        .value_kind:     global_buffer
      - .offset:         8
        .size:           8
        .value_kind:     by_value
      - .actual_access:  read_only
        .address_space:  global
        .offset:         16
        .size:           8
        .value_kind:     global_buffer
      - .actual_access:  read_only
        .address_space:  global
        .offset:         24
        .size:           8
        .value_kind:     global_buffer
      - .offset:         32
        .size:           8
        .value_kind:     by_value
      - .actual_access:  read_only
        .address_space:  global
        .offset:         40
        .size:           8
        .value_kind:     global_buffer
      - .actual_access:  read_only
        .address_space:  global
        .offset:         48
        .size:           8
        .value_kind:     global_buffer
      - .offset:         56
        .size:           4
        .value_kind:     by_value
      - .actual_access:  read_only
        .address_space:  global
        .offset:         64
        .size:           8
        .value_kind:     global_buffer
      - .actual_access:  read_only
        .address_space:  global
        .offset:         72
        .size:           8
        .value_kind:     global_buffer
      - .address_space:  global
        .offset:         80
        .size:           8
        .value_kind:     global_buffer
    .group_segment_fixed_size: 0
    .kernarg_segment_align: 8
    .kernarg_segment_size: 88
    .language:       OpenCL C
    .language_version:
      - 2
      - 0
    .max_flat_workgroup_size: 170
    .name:           fft_rtc_back_len1700_factors_17_10_10_wgs_170_tpt_170_halfLds_half_ip_CI_unitstride_sbrr_C2R_dirReg
    .private_segment_fixed_size: 0
    .sgpr_count:     23
    .sgpr_spill_count: 0
    .symbol:         fft_rtc_back_len1700_factors_17_10_10_wgs_170_tpt_170_halfLds_half_ip_CI_unitstride_sbrr_C2R_dirReg.kd
    .uniform_work_group_size: 1
    .uses_dynamic_stack: false
    .vgpr_count:     147
    .vgpr_spill_count: 0
    .wavefront_size: 32
    .workgroup_processor_mode: 1
amdhsa.target:   amdgcn-amd-amdhsa--gfx1030
amdhsa.version:
  - 1
  - 2
...

	.end_amdgpu_metadata
